;; amdgpu-corpus repo=ROCm/rocFFT kind=compiled arch=gfx1030 opt=O3
	.text
	.amdgcn_target "amdgcn-amd-amdhsa--gfx1030"
	.amdhsa_code_object_version 6
	.protected	bluestein_single_back_len952_dim1_sp_op_CI_CI ; -- Begin function bluestein_single_back_len952_dim1_sp_op_CI_CI
	.globl	bluestein_single_back_len952_dim1_sp_op_CI_CI
	.p2align	8
	.type	bluestein_single_back_len952_dim1_sp_op_CI_CI,@function
bluestein_single_back_len952_dim1_sp_op_CI_CI: ; @bluestein_single_back_len952_dim1_sp_op_CI_CI
; %bb.0:
	s_load_dwordx4 s[0:3], s[4:5], 0x28
	v_mul_u32_u24_e32 v1, 0x3c4, v0
	v_lshrrev_b32_e32 v1, 16, v1
	v_mad_u64_u32 v[72:73], null, s6, 3, v[1:2]
	v_mov_b32_e32 v73, 0
                                        ; kill: def $vgpr2 killed $sgpr0 killed $exec
	s_waitcnt lgkmcnt(0)
	v_cmp_gt_u64_e32 vcc_lo, s[0:1], v[72:73]
	s_and_saveexec_b32 s0, vcc_lo
	s_cbranch_execz .LBB0_23
; %bb.1:
	v_mul_hi_u32 v2, 0xaaaaaaab, v72
	v_mul_lo_u16 v1, 0x44, v1
	s_clause 0x1
	s_load_dwordx2 s[12:13], s[4:5], 0x0
	s_load_dwordx2 s[14:15], s[4:5], 0x38
	v_sub_nc_u16 v0, v0, v1
	v_lshrrev_b32_e32 v2, 1, v2
	v_and_b32_e32 v106, 0xffff, v0
	v_cmp_gt_u16_e32 vcc_lo, 56, v0
	v_lshl_add_u32 v2, v2, 1, v2
	v_lshlrev_b32_e32 v105, 3, v106
	v_or_b32_e32 v104, 0x1c0, v106
	v_sub_nc_u32_e32 v1, v72, v2
	v_or_b32_e32 v103, 0x380, v106
	v_mul_u32_u24_e32 v52, 0x3b8, v1
	v_lshlrev_b32_e32 v107, 3, v52
	s_and_saveexec_b32 s1, vcc_lo
	s_cbranch_execz .LBB0_3
; %bb.2:
	s_load_dwordx2 s[6:7], s[4:5], 0x18
	s_waitcnt lgkmcnt(0)
	v_add_co_u32 v40, s0, s12, v105
	v_add_co_ci_u32_e64 v41, null, s13, 0, s0
	v_lshlrev_b32_e32 v16, 3, v104
	v_add_co_u32 v14, s0, 0x800, v40
	v_add_co_ci_u32_e64 v15, s0, 0, v41, s0
	v_lshlrev_b32_e32 v18, 3, v103
	v_lshl_add_u32 v51, v106, 3, v107
	s_load_dwordx4 s[8:11], s[6:7], 0x0
	s_clause 0x6
	global_load_dwordx2 v[0:1], v105, s[12:13]
	global_load_dwordx2 v[2:3], v105, s[12:13] offset:448
	global_load_dwordx2 v[4:5], v105, s[12:13] offset:896
	;; [unrolled: 1-line block ×4, first 2 shown]
	global_load_dwordx2 v[16:17], v16, s[12:13]
	global_load_dwordx2 v[18:19], v18, s[12:13]
	s_waitcnt lgkmcnt(0)
	v_mad_u64_u32 v[10:11], null, s10, v72, 0
	v_mad_u64_u32 v[12:13], null, s8, v106, 0
	s_mul_i32 s0, s9, 0x1c0
	s_mul_hi_u32 s6, s8, 0x1c0
	s_mul_i32 s7, s8, 0x1c0
	s_add_i32 s6, s6, s0
	v_mad_u64_u32 v[20:21], null, s11, v72, v[11:12]
	v_mad_u64_u32 v[23:24], null, s9, v106, v[13:14]
	;; [unrolled: 1-line block ×4, first 2 shown]
	v_mov_b32_e32 v11, v20
	v_mov_b32_e32 v13, v23
	;; [unrolled: 1-line block ×3, first 2 shown]
	v_lshlrev_b64 v[10:11], 3, v[10:11]
	v_mov_b32_e32 v22, v25
	v_lshlrev_b64 v[12:13], 3, v[12:13]
	v_mad_u64_u32 v[25:26], null, s9, v104, v[20:21]
	v_add_co_u32 v34, s0, s2, v10
	v_add_co_ci_u32_e64 v35, s0, s3, v11, s0
	v_mad_u64_u32 v[10:11], null, s9, v103, v[22:23]
	v_add_co_u32 v11, s0, v34, v12
	v_add_co_ci_u32_e64 v12, s0, v35, v13, s0
	v_mov_b32_e32 v22, v25
	v_add_co_u32 v26, s0, v11, s7
	v_add_co_ci_u32_e64 v27, s0, s6, v12, s0
	v_lshlrev_b64 v[20:21], 3, v[21:22]
	v_add_co_u32 v28, s0, v26, s7
	v_add_co_ci_u32_e64 v29, s0, s6, v27, s0
	v_mov_b32_e32 v25, v10
	v_add_co_u32 v22, s0, v28, s7
	v_add_co_ci_u32_e64 v23, s0, s6, v29, s0
	v_lshlrev_b64 v[24:25], 3, v[24:25]
	v_add_co_u32 v30, s0, v22, s7
	v_add_co_ci_u32_e64 v31, s0, s6, v23, s0
	v_add_co_u32 v20, s0, v34, v20
	v_add_co_ci_u32_e64 v21, s0, v35, v21, s0
	;; [unrolled: 2-line block ×5, first 2 shown]
	global_load_dwordx2 v[10:11], v[11:12], off
	v_add_co_u32 v12, s0, v34, s7
	v_add_co_ci_u32_e64 v13, s0, s6, v35, s0
	v_add_co_u32 v38, s0, 0x1000, v40
	v_add_co_ci_u32_e64 v39, s0, 0, v41, s0
	v_mad_u64_u32 v[36:37], null, 0x380, s8, v[12:13]
	s_clause 0x2
	global_load_dwordx2 v[20:21], v[20:21], off
	global_load_dwordx2 v[24:25], v[24:25], off
	;; [unrolled: 1-line block ×3, first 2 shown]
	v_add_co_u32 v40, s0, 0x1800, v40
	v_add_co_ci_u32_e64 v41, s0, 0, v41, s0
	s_clause 0x2
	global_load_dwordx2 v[28:29], v[28:29], off
	global_load_dwordx2 v[22:23], v[22:23], off
	;; [unrolled: 1-line block ×3, first 2 shown]
	v_mad_u64_u32 v[42:43], null, 0x380, s9, v[37:38]
	v_add_co_u32 v57, s0, v36, s7
	s_clause 0x3
	global_load_dwordx2 v[43:44], v[14:15], off offset:192
	global_load_dwordx2 v[45:46], v[14:15], off offset:640
	;; [unrolled: 1-line block ×4, first 2 shown]
	global_load_dwordx2 v[32:33], v[32:33], off
	s_clause 0x3
	global_load_dwordx2 v[49:50], v[38:39], off offset:384
	global_load_dwordx2 v[53:54], v[38:39], off offset:832
	;; [unrolled: 1-line block ×4, first 2 shown]
	global_load_dwordx2 v[34:35], v[34:35], off
	global_load_dwordx2 v[12:13], v[12:13], off
	v_mov_b32_e32 v37, v42
	v_add_nc_u32_e32 v42, v107, v105
	v_add_co_ci_u32_e64 v58, s0, s6, v37, s0
	v_add_co_u32 v59, s0, v57, s7
	global_load_dwordx2 v[36:37], v[36:37], off
	v_add_co_ci_u32_e64 v60, s0, s6, v58, s0
	v_add_co_u32 v61, s0, v59, s7
	global_load_dwordx2 v[57:58], v[57:58], off
	;; [unrolled: 3-line block ×5, first 2 shown]
	v_add_co_ci_u32_e64 v68, s0, s6, v66, s0
	global_load_dwordx2 v[65:66], v[65:66], off
	s_clause 0x1
	global_load_dwordx2 v[69:70], v[40:41], off offset:128
	global_load_dwordx2 v[40:41], v[40:41], off offset:576
	global_load_dwordx2 v[67:68], v[67:68], off
	v_add_nc_u32_e32 v71, 0x800, v42
	v_add_nc_u32_e32 v77, 0xc00, v42
	v_add_nc_u32_e32 v78, 0x1000, v42
	v_add_nc_u32_e32 v79, 0x1400, v42
	s_waitcnt vmcnt(26)
	v_mul_f32_e32 v73, v11, v1
	v_mul_f32_e32 v1, v10, v1
	v_fmac_f32_e32 v73, v10, v0
	v_fma_f32 v74, v11, v0, -v1
	s_waitcnt vmcnt(25)
	v_mul_f32_e32 v75, v21, v17
	v_mul_f32_e32 v76, v20, v17
	s_waitcnt vmcnt(23)
	v_mul_f32_e32 v0, v27, v3
	v_mul_f32_e32 v1, v26, v3
	;; [unrolled: 1-line block ×3, first 2 shown]
	s_waitcnt vmcnt(22)
	v_mul_f32_e32 v3, v29, v5
	v_mul_f32_e32 v10, v28, v5
	v_fmac_f32_e32 v0, v26, v2
	v_fma_f32 v1, v27, v2, -v1
	s_waitcnt vmcnt(21)
	v_mul_f32_e32 v5, v23, v7
	v_mul_f32_e32 v2, v22, v7
	s_waitcnt vmcnt(20)
	v_mul_f32_e32 v7, v31, v9
	v_fmac_f32_e32 v75, v20, v16
	v_fma_f32 v76, v21, v16, -v76
	v_fmac_f32_e32 v5, v22, v6
	v_fma_f32 v6, v23, v6, -v2
	v_mul_f32_e32 v2, v30, v9
	v_fmac_f32_e32 v3, v28, v4
	v_fma_f32 v4, v29, v4, -v10
	v_fmac_f32_e32 v7, v30, v8
	s_waitcnt vmcnt(9)
	v_mul_f32_e32 v16, v12, v48
	v_fma_f32 v8, v31, v8, -v2
	v_mul_f32_e32 v2, v13, v48
	v_mul_f32_e32 v19, v24, v19
	ds_write_b64 v51, v[73:74]
	ds_write2_b64 v42, v[0:1], v[3:4] offset0:56 offset1:112
	ds_write2_b64 v42, v[5:6], v[7:8] offset0:168 offset1:224
	v_fma_f32 v3, v13, v47, -v16
	v_fmac_f32_e32 v2, v12, v47
	v_fmac_f32_e32 v17, v24, v18
	v_fma_f32 v18, v25, v18, -v19
	v_mul_f32_e32 v9, v33, v44
	v_mul_f32_e32 v10, v32, v44
	;; [unrolled: 1-line block ×4, first 2 shown]
	ds_write2_b64 v71, v[2:3], v[75:76] offset0:136 offset1:192
	s_waitcnt vmcnt(7)
	v_mul_f32_e32 v3, v57, v50
	v_fmac_f32_e32 v9, v32, v43
	v_fma_f32 v10, v33, v43, -v10
	v_fmac_f32_e32 v19, v34, v45
	v_fma_f32 v20, v35, v45, -v11
	v_mul_f32_e32 v0, v37, v15
	v_mul_f32_e32 v1, v36, v15
	;; [unrolled: 1-line block ×3, first 2 shown]
	s_waitcnt vmcnt(6)
	v_mul_f32_e32 v2, v60, v54
	v_fma_f32 v5, v58, v49, -v3
	v_mul_f32_e32 v3, v59, v54
	s_waitcnt vmcnt(5)
	v_mul_f32_e32 v6, v62, v56
	v_mul_f32_e32 v7, v61, v56
	ds_write2_b64 v71, v[9:10], v[19:20] offset0:24 offset1:80
	s_waitcnt vmcnt(4)
	v_mul_f32_e32 v8, v64, v39
	v_mul_f32_e32 v9, v63, v39
	s_waitcnt vmcnt(2)
	v_mul_f32_e32 v10, v66, v70
	v_mul_f32_e32 v11, v65, v70
	;; [unrolled: 3-line block ×3, first 2 shown]
	v_fmac_f32_e32 v0, v36, v14
	v_fma_f32 v1, v37, v14, -v1
	v_fmac_f32_e32 v4, v57, v49
	v_fmac_f32_e32 v2, v59, v53
	v_fma_f32 v3, v60, v53, -v3
	v_fmac_f32_e32 v6, v61, v55
	v_fma_f32 v7, v62, v55, -v7
	;; [unrolled: 2-line block ×5, first 2 shown]
	v_add_nc_u32_e32 v14, 0x1800, v42
	ds_write2_b64 v77, v[0:1], v[4:5] offset0:120 offset1:176
	ds_write2_b64 v78, v[2:3], v[6:7] offset0:104 offset1:160
	;; [unrolled: 1-line block ×4, first 2 shown]
.LBB0_3:
	s_or_b32 exec_lo, exec_lo, s1
	v_mov_b32_e32 v4, 0
	v_mov_b32_e32 v5, 0
	s_waitcnt lgkmcnt(0)
	s_barrier
	buffer_gl0_inv
                                        ; implicit-def: $vgpr10
                                        ; implicit-def: $vgpr0
                                        ; implicit-def: $vgpr14
                                        ; implicit-def: $vgpr18
                                        ; implicit-def: $vgpr22
                                        ; implicit-def: $vgpr30
                                        ; implicit-def: $vgpr34
                                        ; implicit-def: $vgpr26
	s_and_saveexec_b32 s0, vcc_lo
	s_cbranch_execz .LBB0_5
; %bb.4:
	v_lshl_add_u32 v0, v52, 3, v105
	v_add_nc_u32_e32 v1, 0x400, v0
	v_add_nc_u32_e32 v2, 0x800, v0
	;; [unrolled: 1-line block ×4, first 2 shown]
	ds_read2_b64 v[4:7], v0 offset1:56
	ds_read2_b64 v[24:27], v0 offset0:112 offset1:168
	ds_read2_b64 v[32:35], v1 offset0:96 offset1:152
	;; [unrolled: 1-line block ×7, first 2 shown]
	ds_read_b64 v[0:1], v0 offset:7168
.LBB0_5:
	s_or_b32 exec_lo, exec_lo, s0
	s_waitcnt lgkmcnt(0)
	v_sub_f32_e32 v46, v7, v1
	v_sub_f32_e32 v88, v6, v0
	v_add_f32_e32 v84, v0, v6
	v_sub_f32_e32 v48, v25, v11
	v_add_f32_e32 v86, v1, v7
	v_mul_f32_e32 v50, 0xbeb8f4ab, v46
	v_mul_f32_e32 v51, 0xbeb8f4ab, v88
	v_add_f32_e32 v85, v10, v24
	v_sub_f32_e32 v92, v24, v10
	v_mul_f32_e32 v53, 0xbf2c7751, v48
	v_fmamk_f32 v2, v84, 0x3f6eb680, v50
	v_fma_f32 v3, 0x3f6eb680, v86, -v51
	v_mul_f32_e32 v59, 0xbf2c7751, v46
	v_add_f32_e32 v87, v11, v25
	v_fmamk_f32 v38, v85, 0x3f3d2fb0, v53
	v_add_f32_e32 v2, v2, v4
	v_mul_f32_e32 v54, 0xbf2c7751, v92
	v_add_f32_e32 v3, v3, v5
	v_fmamk_f32 v36, v84, 0x3f3d2fb0, v59
	v_mul_f32_e32 v63, 0xbf7ee86f, v48
	v_add_f32_e32 v2, v38, v2
	v_fma_f32 v38, 0x3f3d2fb0, v87, -v54
	v_sub_f32_e32 v99, v26, v8
	v_mul_f32_e32 v61, 0xbf2c7751, v88
	v_add_f32_e32 v36, v36, v4
	v_sub_f32_e32 v49, v27, v9
	v_add_f32_e32 v3, v38, v3
	v_fmamk_f32 v38, v85, 0x3dbcf732, v63
	v_add_f32_e32 v90, v9, v27
	v_mul_f32_e32 v56, 0xbf65296c, v99
	v_fma_f32 v37, 0x3f3d2fb0, v86, -v61
	v_mul_f32_e32 v66, 0xbf7ee86f, v92
	v_add_f32_e32 v89, v8, v26
	v_mul_f32_e32 v55, 0xbf65296c, v49
	v_add_f32_e32 v36, v38, v36
	v_sub_f32_e32 v144, v33, v15
	v_fma_f32 v38, 0x3ee437d1, v90, -v56
	v_mul_f32_e32 v67, 0xbf4c4adb, v49
	v_sub_f32_e32 v114, v32, v14
	v_add_f32_e32 v37, v37, v5
	v_fma_f32 v39, 0x3dbcf732, v87, -v66
	v_fmamk_f32 v40, v89, 0x3ee437d1, v55
	v_mul_f32_e32 v71, 0xbf4c4adb, v99
	v_add_f32_e32 v91, v14, v32
	v_mul_f32_e32 v57, 0xbf7ee86f, v144
	v_add_f32_e32 v3, v38, v3
	v_fmamk_f32 v38, v89, 0xbf1a4643, v67
	v_add_f32_e32 v93, v15, v33
	v_mul_f32_e32 v58, 0xbf7ee86f, v114
	v_sub_f32_e32 v116, v34, v12
	v_add_f32_e32 v37, v39, v37
	v_add_f32_e32 v2, v40, v2
	v_fma_f32 v39, 0xbf1a4643, v90, -v71
	v_fmamk_f32 v40, v91, 0x3dbcf732, v57
	v_add_f32_e32 v36, v38, v36
	v_sub_f32_e32 v146, v35, v13
	v_fma_f32 v38, 0x3dbcf732, v93, -v58
	v_mul_f32_e32 v74, 0xbe3c28d5, v144
	v_mul_f32_e32 v75, 0xbe3c28d5, v114
	v_add_f32_e32 v95, v13, v35
	v_mul_f32_e32 v62, 0xbf763a35, v116
	v_sub_f32_e32 v125, v28, v18
	v_add_f32_e32 v37, v39, v37
	v_add_f32_e32 v2, v40, v2
	;; [unrolled: 1-line block ×3, first 2 shown]
	v_mul_f32_e32 v60, 0xbf763a35, v146
	v_fmamk_f32 v39, v91, 0xbf7ba420, v74
	v_fma_f32 v40, 0xbf7ba420, v93, -v75
	v_add_f32_e32 v3, v38, v3
	v_fma_f32 v38, 0xbe8c1d8e, v95, -v62
	v_sub_f32_e32 v150, v29, v19
	v_mul_f32_e32 v69, 0x3f06c442, v146
	v_mul_f32_e32 v80, 0x3f06c442, v116
	v_add_f32_e32 v97, v19, v29
	v_mul_f32_e32 v65, 0xbf4c4adb, v125
	v_fmamk_f32 v41, v94, 0xbe8c1d8e, v60
	v_add_f32_e32 v36, v39, v36
	v_add_f32_e32 v37, v40, v37
	;; [unrolled: 1-line block ×3, first 2 shown]
	v_mul_f32_e32 v64, 0xbf4c4adb, v150
	v_fmamk_f32 v39, v94, 0xbf59a7d5, v69
	v_fma_f32 v40, 0xbf59a7d5, v95, -v80
	v_add_f32_e32 v3, v38, v3
	v_fma_f32 v38, 0xbf1a4643, v97, -v65
	v_mul_f32_e32 v73, 0x3f763a35, v150
	v_sub_f32_e32 v147, v31, v17
	v_mul_f32_e32 v81, 0x3f763a35, v125
	v_sub_f32_e32 v127, v30, v16
	v_add_f32_e32 v2, v41, v2
	v_fmamk_f32 v41, v96, 0xbf1a4643, v64
	v_add_f32_e32 v36, v39, v36
	v_add_f32_e32 v37, v40, v37
	;; [unrolled: 1-line block ×3, first 2 shown]
	v_fmamk_f32 v38, v96, 0xbe8c1d8e, v73
	v_add_f32_e32 v112, v16, v30
	v_mul_f32_e32 v68, 0xbf06c442, v147
	v_add_f32_e32 v113, v17, v31
	v_mul_f32_e32 v70, 0xbf06c442, v127
	v_fma_f32 v39, 0xbe8c1d8e, v97, -v81
	v_mul_f32_e32 v102, 0xbf65296c, v46
	v_add_f32_e32 v2, v41, v2
	v_mul_f32_e32 v76, 0x3f65296c, v147
	v_fmamk_f32 v40, v112, 0xbf59a7d5, v68
	v_add_f32_e32 v36, v38, v36
	v_fma_f32 v38, 0xbf59a7d5, v113, -v70
	v_add_f32_e32 v37, v39, v37
	v_mul_f32_e32 v83, 0x3f65296c, v127
	v_sub_f32_e32 v149, v21, v23
	v_fmamk_f32 v39, v84, 0x3ee437d1, v102
	v_mul_f32_e32 v108, 0xbf4c4adb, v48
	v_fmamk_f32 v41, v112, 0x3ee437d1, v76
	v_add_f32_e32 v2, v40, v2
	v_add_f32_e32 v3, v38, v3
	v_sub_f32_e32 v133, v20, v22
	v_fma_f32 v38, 0x3ee437d1, v113, -v83
	v_add_f32_e32 v115, v22, v20
	v_mul_f32_e32 v77, 0xbe3c28d5, v149
	v_mul_f32_e32 v79, 0x3eb8f4ab, v149
	v_add_f32_e32 v39, v39, v4
	v_fmamk_f32 v40, v85, 0xbf1a4643, v108
	v_mul_f32_e32 v109, 0x3e3c28d5, v49
	v_add_f32_e32 v36, v41, v36
	v_add_f32_e32 v117, v23, v21
	v_mul_f32_e32 v78, 0xbe3c28d5, v133
	v_add_f32_e32 v37, v38, v37
	v_fmamk_f32 v38, v115, 0xbf7ba420, v77
	v_fmamk_f32 v42, v115, 0x3f6eb680, v79
	v_add_f32_e32 v39, v40, v39
	v_fmamk_f32 v40, v89, 0xbf7ba420, v109
	v_mul_f32_e32 v98, 0x3f763a35, v144
	v_mul_f32_e32 v121, 0xbf65296c, v88
	v_fma_f32 v41, 0xbf7ba420, v117, -v78
	v_add_f32_e32 v2, v38, v2
	v_add_f32_e32 v39, v40, v39
	v_fmamk_f32 v40, v91, 0xbe8c1d8e, v98
	v_mul_f32_e32 v110, 0x3f2c7751, v146
	v_add_f32_e32 v38, v42, v36
	v_fma_f32 v36, 0x3ee437d1, v86, -v121
	v_mul_f32_e32 v122, 0xbf4c4adb, v92
	v_add_f32_e32 v3, v41, v3
	v_add_f32_e32 v39, v40, v39
	v_fmamk_f32 v40, v94, 0x3f3d2fb0, v110
	v_mul_f32_e32 v111, 0xbeb8f4ab, v150
	v_add_f32_e32 v36, v36, v5
	v_fma_f32 v41, 0xbf1a4643, v87, -v122
	v_mul_f32_e32 v123, 0x3e3c28d5, v99
	v_mul_f32_e32 v82, 0x3eb8f4ab, v133
	v_add_f32_e32 v39, v40, v39
	v_fmamk_f32 v40, v96, 0x3f6eb680, v111
	v_mul_f32_e32 v100, 0xbf7ee86f, v147
	v_add_f32_e32 v36, v41, v36
	v_fma_f32 v41, 0xbf7ba420, v90, -v123
	v_mul_f32_e32 v118, 0x3f763a35, v114
	v_fma_f32 v43, 0x3f6eb680, v117, -v82
	v_add_f32_e32 v40, v40, v39
	v_fmamk_f32 v42, v112, 0x3dbcf732, v100
	v_mul_f32_e32 v101, 0xbf06c442, v149
	v_add_f32_e32 v36, v41, v36
	v_fma_f32 v41, 0xbe8c1d8e, v93, -v118
	v_mul_f32_e32 v119, 0x3f2c7751, v116
	v_add_f32_e32 v39, v43, v37
	v_add_f32_e32 v37, v42, v40
	v_fmamk_f32 v40, v115, 0xbf59a7d5, v101
	v_add_f32_e32 v41, v41, v36
	v_fma_f32 v42, 0x3f3d2fb0, v95, -v119
	v_mul_f32_e32 v120, 0xbeb8f4ab, v125
	v_mul_f32_e32 v134, 0xbf7ee86f, v46
	;; [unrolled: 1-line block ×3, first 2 shown]
	v_add_f32_e32 v36, v40, v37
	v_add_f32_e32 v37, v42, v41
	v_fma_f32 v40, 0x3f6eb680, v97, -v120
	v_fmamk_f32 v41, v84, 0x3dbcf732, v134
	v_mul_f32_e32 v135, 0xbe3c28d5, v48
	v_fma_f32 v42, 0x3dbcf732, v86, -v139
	v_mul_f32_e32 v140, 0xbe3c28d5, v92
	v_add_f32_e32 v37, v40, v37
	v_add_f32_e32 v40, v41, v4
	v_fmamk_f32 v41, v85, 0xbf7ba420, v135
	v_add_f32_e32 v42, v42, v5
	v_fma_f32 v43, 0xbf7ba420, v87, -v140
	v_mul_f32_e32 v128, 0x3f763a35, v49
	v_mul_f32_e32 v141, 0x3f763a35, v99
	v_add_f32_e32 v40, v41, v40
	v_mul_f32_e32 v130, 0x3eb8f4ab, v144
	v_add_f32_e32 v41, v43, v42
	v_fmamk_f32 v42, v89, 0xbe8c1d8e, v128
	v_fma_f32 v43, 0xbe8c1d8e, v90, -v141
	v_mul_f32_e32 v142, 0x3eb8f4ab, v114
	v_mul_f32_e32 v132, 0xbf65296c, v146
	v_mul_f32_e32 v143, 0xbf65296c, v116
	v_add_f32_e32 v40, v42, v40
	v_add_f32_e32 v41, v43, v41
	v_fmamk_f32 v42, v91, 0x3f6eb680, v130
	v_fma_f32 v43, 0x3f6eb680, v93, -v142
	v_mul_f32_e32 v129, 0xbf06c442, v150
	v_mul_f32_e32 v138, 0xbf06c442, v125
	v_mul_f32_e32 v131, 0x3f4c4adb, v147
	v_add_f32_e32 v40, v42, v40
	;; [unrolled: 7-line block ×3, first 2 shown]
	v_fmamk_f32 v42, v96, 0xbf59a7d5, v129
	v_add_f32_e32 v41, v43, v41
	v_fma_f32 v43, 0xbf59a7d5, v97, -v138
	v_fmamk_f32 v45, v84, 0xbe8c1d8e, v151
	v_mul_f32_e32 v164, 0xbf763a35, v88
	v_add_f32_e32 v40, v42, v40
	v_fmamk_f32 v42, v112, 0xbf1a4643, v131
	v_add_f32_e32 v41, v43, v41
	v_fma_f32 v43, 0xbf1a4643, v113, -v137
	v_mul_f32_e32 v158, 0x3f2c7751, v49
	v_mul_f32_e32 v165, 0x3f06c442, v92
	v_add_f32_e32 v40, v42, v40
	v_add_f32_e32 v42, v45, v4
	;; [unrolled: 1-line block ×3, first 2 shown]
	v_fmamk_f32 v43, v85, 0xbf59a7d5, v152
	v_fma_f32 v45, 0xbe8c1d8e, v86, -v164
	v_mul_f32_e32 v157, 0xbf65296c, v144
	v_fma_f32 v47, 0xbf59a7d5, v87, -v165
	v_mul_f32_e32 v163, 0x3f2c7751, v99
	v_add_f32_e32 v42, v43, v42
	v_fmamk_f32 v43, v89, 0x3f3d2fb0, v158
	v_add_f32_e32 v45, v45, v5
	v_mul_f32_e32 v156, 0xbe3c28d5, v146
	v_mul_f32_e32 v162, 0xbf65296c, v114
	;; [unrolled: 1-line block ×3, first 2 shown]
	v_add_f32_e32 v42, v43, v42
	v_fmamk_f32 v43, v91, 0x3ee437d1, v157
	v_add_f32_e32 v45, v47, v45
	v_fma_f32 v47, 0x3f3d2fb0, v90, -v163
	v_mul_f32_e32 v161, 0xbe3c28d5, v116
	v_mul_f32_e32 v160, 0x3f7ee86f, v125
	v_add_f32_e32 v42, v43, v42
	v_fmamk_f32 v43, v94, 0xbf7ba420, v156
	v_add_f32_e32 v45, v47, v45
	v_fma_f32 v47, 0x3ee437d1, v93, -v162
	v_mul_f32_e32 v124, 0xbf7ee86f, v127
	v_mul_f32_e32 v153, 0xbeb8f4ab, v147
	v_add_f32_e32 v42, v43, v42
	v_fmamk_f32 v43, v96, 0x3dbcf732, v154
	v_add_f32_e32 v45, v47, v45
	v_fma_f32 v47, 0xbf7ba420, v95, -v161
	v_mul_f32_e32 v159, 0xbeb8f4ab, v127
	s_clause 0x1
	s_load_dwordx2 s[6:7], s[4:5], 0x20
	s_load_dwordx2 s[2:3], s[4:5], 0x8
	v_add_f32_e32 v42, v43, v42
	v_fma_f32 v44, 0x3dbcf732, v113, -v124
	v_add_f32_e32 v43, v47, v45
	v_fma_f32 v45, 0x3dbcf732, v97, -v160
	v_mul_f32_e32 v126, 0xbf06c442, v133
	v_mul_f32_e32 v136, 0x3f2c7751, v149
	;; [unrolled: 1-line block ×3, first 2 shown]
	v_fmamk_f32 v47, v112, 0x3f6eb680, v153
	v_mul_f32_e32 v148, 0xbf4c4adb, v149
	v_add_f32_e32 v43, v45, v43
	v_fma_f32 v45, 0x3f6eb680, v113, -v159
	v_mul_f32_e32 v155, 0xbf4c4adb, v133
	v_add_f32_e32 v37, v44, v37
	v_fma_f32 v44, 0xbf59a7d5, v117, -v126
	v_fmamk_f32 v166, v115, 0x3f3d2fb0, v136
	v_fma_f32 v167, 0x3f3d2fb0, v117, -v145
	v_add_f32_e32 v47, v47, v42
	v_fmamk_f32 v168, v115, 0xbf1a4643, v148
	v_add_f32_e32 v45, v45, v43
	v_fma_f32 v169, 0xbf1a4643, v117, -v155
	v_add_f32_e32 v37, v44, v37
	v_add_f32_e32 v42, v166, v40
	;; [unrolled: 1-line block ×5, first 2 shown]
	s_waitcnt lgkmcnt(0)
	s_barrier
	buffer_gl0_inv
	s_and_saveexec_b32 s0, vcc_lo
	s_cbranch_execz .LBB0_7
; %bb.6:
	v_mul_f32_e32 v167, 0xbf1a4643, v86
	v_mul_f32_e32 v168, 0xbe8c1d8e, v87
	;; [unrolled: 1-line block ×5, first 2 shown]
	v_fmamk_f32 v44, v88, 0x3f4c4adb, v167
	v_fmamk_f32 v45, v92, 0xbf763a35, v168
	;; [unrolled: 1-line block ×3, first 2 shown]
	v_mul_f32_e32 v171, 0x3dbcf732, v95
	v_mul_f32_e32 v175, 0x3f763a35, v48
	v_add_f32_e32 v44, v44, v5
	v_fmamk_f32 v179, v114, 0x3f06c442, v170
	v_mul_f32_e32 v172, 0x3f3d2fb0, v97
	v_mul_f32_e32 v176, 0xbeb8f4ab, v49
	v_fmamk_f32 v181, v116, 0xbf7ee86f, v171
	v_add_f32_e32 v44, v45, v44
	v_fmamk_f32 v45, v84, 0xbf1a4643, v174
	v_mul_f32_e32 v173, 0xbf7ba420, v113
	v_fmamk_f32 v182, v89, 0x3f6eb680, v176
	v_mul_f32_e32 v177, 0xbf06c442, v144
	v_add_f32_e32 v44, v47, v44
	v_fmamk_f32 v47, v85, 0xbe8c1d8e, v175
	v_add_f32_e32 v45, v45, v4
	v_mul_f32_e32 v184, 0x3ee437d1, v87
	v_mul_f32_e32 v178, 0x3f7ee86f, v146
	v_add_f32_e32 v44, v179, v44
	v_mul_f32_e32 v179, 0xbf59a7d5, v86
	v_add_f32_e32 v45, v47, v45
	v_fmamk_f32 v47, v125, 0x3f2c7751, v172
	v_fmamk_f32 v183, v91, 0xbf59a7d5, v177
	v_add_f32_e32 v44, v181, v44
	v_fmamk_f32 v181, v127, 0x3e3c28d5, v173
	v_add_f32_e32 v45, v182, v45
	v_fmamk_f32 v182, v88, 0x3f06c442, v179
	v_mul_f32_e32 v180, 0xbf2c7751, v150
	v_add_f32_e32 v44, v47, v44
	v_fmamk_f32 v47, v94, 0x3dbcf732, v178
	v_add_f32_e32 v45, v183, v45
	v_add_f32_e32 v182, v182, v5
	v_mul_f32_e32 v183, 0x3dbcf732, v90
	v_add_f32_e32 v44, v181, v44
	v_fmamk_f32 v181, v92, 0xbf65296c, v184
	v_add_f32_e32 v45, v47, v45
	v_fmamk_f32 v47, v96, 0x3f3d2fb0, v180
	v_mul_f32_e32 v185, 0xbe3c28d5, v147
	v_mul_f32_e32 v189, 0x3f65296c, v48
	v_add_f32_e32 v181, v181, v182
	v_mul_f32_e32 v182, 0xbf06c442, v46
	v_fmamk_f32 v186, v99, 0x3f7ee86f, v183
	v_mul_f32_e32 v187, 0xbf1a4643, v93
	v_add_f32_e32 v45, v47, v45
	v_fmamk_f32 v47, v112, 0xbf7ba420, v185
	v_fmamk_f32 v188, v84, 0xbf59a7d5, v182
	;; [unrolled: 1-line block ×3, first 2 shown]
	v_mul_f32_e32 v192, 0xbf7ee86f, v49
	v_mul_f32_e32 v166, 0x3ee437d1, v117
	;; [unrolled: 1-line block ×3, first 2 shown]
	v_add_f32_e32 v188, v188, v4
	v_add_f32_e32 v181, v186, v181
	v_fmamk_f32 v186, v114, 0xbf4c4adb, v187
	v_mul_f32_e32 v193, 0x3f6eb680, v95
	v_add_f32_e32 v47, v47, v45
	v_add_f32_e32 v45, v191, v188
	v_fmamk_f32 v188, v89, 0x3dbcf732, v192
	v_mul_f32_e32 v191, 0x3f4c4adb, v144
	v_fmamk_f32 v194, v133, 0xbf65296c, v166
	v_fmamk_f32 v195, v115, 0x3ee437d1, v190
	v_add_f32_e32 v181, v186, v181
	v_fmamk_f32 v186, v116, 0x3eb8f4ab, v193
	v_add_f32_e32 v188, v188, v45
	v_fmamk_f32 v196, v91, 0xbf1a4643, v191
	v_mul_f32_e32 v197, 0xbeb8f4ab, v146
	v_mul_f32_e32 v198, 0xbf7ba420, v97
	v_add_f32_e32 v45, v194, v44
	v_add_f32_e32 v44, v195, v47
	;; [unrolled: 1-line block ×3, first 2 shown]
	v_fmamk_f32 v188, v94, 0x3f6eb680, v197
	v_mul_f32_e32 v194, 0xbe3c28d5, v150
	v_add_f32_e32 v181, v186, v181
	v_fmamk_f32 v186, v125, 0x3e3c28d5, v198
	v_mul_f32_e32 v195, 0x3f3d2fb0, v113
	v_add_f32_e32 v47, v188, v47
	v_fmamk_f32 v188, v96, 0xbf7ba420, v194
	v_mul_f32_e32 v196, 0x3f2c7751, v147
	v_add_f32_e32 v181, v186, v181
	v_fmamk_f32 v186, v127, 0xbf2c7751, v195
	v_mul_f32_e32 v199, 0xbe8c1d8e, v117
	v_mul_f32_e32 v200, 0xbf7ba420, v86
	v_add_f32_e32 v47, v188, v47
	v_fmamk_f32 v188, v112, 0x3f3d2fb0, v196
	v_add_f32_e32 v181, v186, v181
	v_fmamk_f32 v186, v133, 0x3f763a35, v199
	v_mul_f32_e32 v201, 0xbf763a35, v149
	v_fmamk_f32 v202, v88, 0x3e3c28d5, v200
	v_mul_f32_e32 v203, 0x3f6eb680, v87
	v_add_f32_e32 v188, v188, v47
	v_add_f32_e32 v47, v186, v181
	v_fmamk_f32 v181, v115, 0xbe8c1d8e, v201
	v_mul_f32_e32 v186, 0xbe3c28d5, v46
	v_add_f32_e32 v202, v202, v5
	v_fmamk_f32 v204, v92, 0xbeb8f4ab, v203
	v_mul_f32_e32 v205, 0xbf59a7d5, v90
	;; [unrolled: 3-line block ×11, first 2 shown]
	v_add_f32_e32 v48, v49, v48
	v_fmamk_f32 v49, v127, 0x3f763a35, v210
	v_fmac_f32_e32 v179, 0xbf06c442, v88
	v_add_f32_e32 v146, v181, v146
	v_fmamk_f32 v181, v96, 0x3ee437d1, v150
	v_mul_f32_e32 v206, 0xbf763a35, v147
	v_add_f32_e32 v48, v49, v48
	v_fma_f32 v49, 0xbf59a7d5, v84, -v182
	v_add_f32_e32 v147, v179, v5
	v_fmac_f32_e32 v184, 0x3f65296c, v92
	v_add_f32_e32 v146, v181, v146
	v_fma_f32 v181, 0x3ee437d1, v85, -v189
	v_add_f32_e32 v49, v49, v4
	v_fmac_f32_e32 v183, 0xbf7ee86f, v99
	v_add_f32_e32 v147, v184, v147
	v_fmamk_f32 v179, v112, 0xbe8c1d8e, v206
	v_fmac_f32_e32 v187, 0x3f4c4adb, v114
	v_add_f32_e32 v49, v181, v49
	v_fma_f32 v181, 0x3dbcf732, v89, -v192
	v_add_f32_e32 v147, v183, v147
	v_fma_f32 v183, 0xbf1a4643, v91, -v191
	v_add_f32_e32 v146, v179, v146
	v_mul_f32_e32 v179, 0x3dbcf732, v117
	v_add_f32_e32 v181, v181, v49
	v_mul_f32_e32 v149, 0x3f7ee86f, v149
	v_add_f32_e32 v147, v187, v147
	v_fmac_f32_e32 v193, 0xbeb8f4ab, v116
	v_fmamk_f32 v182, v133, 0xbf7ee86f, v179
	v_add_f32_e32 v181, v183, v181
	v_fma_f32 v183, 0xbf7ba420, v84, -v186
	v_fma_f32 v184, 0x3f6eb680, v85, -v188
	v_add_f32_e32 v147, v193, v147
	v_add_f32_e32 v49, v182, v48
	v_fmamk_f32 v48, v115, 0x3dbcf732, v149
	v_add_f32_e32 v183, v183, v4
	v_fmac_f32_e32 v198, 0xbe3c28d5, v125
	v_fma_f32 v182, 0x3f6eb680, v94, -v197
	v_fma_f32 v144, 0x3f3d2fb0, v91, -v144
	v_add_f32_e32 v48, v48, v146
	v_add_f32_e32 v183, v184, v183
	v_fma_f32 v184, 0xbf59a7d5, v89, -v207
	v_add_f32_e32 v146, v198, v147
	v_add_f32_e32 v147, v182, v181
	v_fma_f32 v181, 0xbf7ba420, v96, -v194
	v_fmac_f32_e32 v167, 0xbf4c4adb, v88
	v_add_f32_e32 v183, v184, v183
	v_fmac_f32_e32 v200, 0xbe3c28d5, v88
	v_fmac_f32_e32 v195, 0x3f2c7751, v127
	v_add_f32_e32 v147, v181, v147
	v_fma_f32 v181, 0x3f3d2fb0, v112, -v196
	v_add_f32_e32 v144, v144, v183
	v_fma_f32 v88, 0xbf1a4643, v94, -v209
	v_fmac_f32_e32 v168, 0x3f763a35, v92
	v_add_f32_e32 v167, v167, v5
	v_add_f32_e32 v146, v195, v146
	;; [unrolled: 1-line block ×3, first 2 shown]
	v_fmac_f32_e32 v199, 0xbf763a35, v133
	v_fma_f32 v186, 0xbe8c1d8e, v115, -v201
	v_add_f32_e32 v88, v88, v144
	v_add_f32_e32 v167, v168, v167
	v_fma_f32 v150, 0x3ee437d1, v96, -v150
	v_fmac_f32_e32 v169, 0xbeb8f4ab, v99
	v_fmac_f32_e32 v203, 0x3eb8f4ab, v92
	;; [unrolled: 1-line block ×3, first 2 shown]
	v_add_f32_e32 v147, v199, v146
	v_add_f32_e32 v146, v186, v181
	v_mul_f32_e32 v181, 0x3f6eb680, v84
	v_mul_f32_e32 v183, 0x3f3d2fb0, v84
	;; [unrolled: 1-line block ×5, first 2 shown]
	v_add_f32_e32 v88, v150, v88
	v_add_f32_e32 v167, v169, v167
	v_fma_f32 v189, 0xbe8c1d8e, v112, -v206
	v_fmac_f32_e32 v170, 0xbf06c442, v114
	v_fma_f32 v84, 0xbf1a4643, v84, -v174
	v_mul_f32_e32 v184, 0x3f6eb680, v86
	v_mul_f32_e32 v186, 0x3f3d2fb0, v86
	v_add_f32_e32 v189, v189, v88
	v_add_f32_e32 v88, v170, v167
	;; [unrolled: 1-line block ×3, first 2 shown]
	v_fma_f32 v170, 0xbe8c1d8e, v85, -v175
	v_mul_f32_e32 v187, 0x3ee437d1, v86
	v_mul_f32_e32 v168, 0x3dbcf732, v86
	;; [unrolled: 1-line block ×3, first 2 shown]
	v_fma_f32 v175, 0x3f6eb680, v89, -v176
	v_add_f32_e32 v84, v170, v84
	v_fmac_f32_e32 v204, 0x3f2c7751, v114
	v_fmac_f32_e32 v202, 0xbf4c4adb, v116
	v_mul_f32_e32 v150, 0x3f3d2fb0, v87
	v_mul_f32_e32 v114, 0x3dbcf732, v87
	;; [unrolled: 1-line block ×3, first 2 shown]
	v_fmac_f32_e32 v171, 0x3f7ee86f, v116
	v_mul_f32_e32 v116, 0xbf7ba420, v87
	v_mul_f32_e32 v87, 0xbf59a7d5, v87
	v_add_f32_e32 v84, v175, v84
	v_fma_f32 v176, 0xbf59a7d5, v91, -v177
	v_add_f32_e32 v86, v164, v86
	v_fmac_f32_e32 v210, 0xbf763a35, v127
	v_add_f32_e32 v88, v171, v88
	v_mul_f32_e32 v171, 0x3ee437d1, v90
	v_fmac_f32_e32 v172, 0xbf2c7751, v125
	v_mul_f32_e32 v175, 0xbf1a4643, v90
	v_fmac_f32_e32 v173, 0xbe3c28d5, v127
	v_mul_f32_e32 v127, 0xbf7ba420, v90
	v_add_f32_e32 v84, v176, v84
	v_mul_f32_e32 v164, 0xbe8c1d8e, v90
	v_mul_f32_e32 v90, 0x3f3d2fb0, v90
	v_fma_f32 v177, 0x3dbcf732, v94, -v178
	v_add_f32_e32 v87, v165, v87
	v_add_f32_e32 v86, v86, v5
	;; [unrolled: 1-line block ×5, first 2 shown]
	v_mul_f32_e32 v188, 0x3f3d2fb0, v85
	v_add_f32_e32 v86, v87, v86
	v_fma_f32 v87, 0x3f3d2fb0, v96, -v180
	v_mul_f32_e32 v169, 0x3dbcf732, v85
	v_mul_f32_e32 v174, 0xbf1a4643, v85
	;; [unrolled: 1-line block ×4, first 2 shown]
	v_add_f32_e32 v88, v173, v88
	v_mul_f32_e32 v173, 0x3dbcf732, v93
	v_mul_f32_e32 v178, 0xbf7ba420, v93
	v_fmac_f32_e32 v179, 0x3f7ee86f, v133
	v_fmac_f32_e32 v166, 0x3f65296c, v133
	v_mul_f32_e32 v133, 0xbe8c1d8e, v93
	v_add_f32_e32 v84, v87, v84
	v_add_f32_e32 v86, v90, v86
	v_mul_f32_e32 v87, 0x3f6eb680, v93
	v_mul_f32_e32 v90, 0x3ee437d1, v93
	v_sub_f32_e32 v93, v99, v151
	v_fmac_f32_e32 v208, 0x3f65296c, v125
	v_mul_f32_e32 v170, 0x3ee437d1, v89
	v_mul_f32_e32 v125, 0xbf1a4643, v89
	v_mul_f32_e32 v172, 0xbf7ba420, v89
	v_mul_f32_e32 v176, 0xbe8c1d8e, v89
	v_mul_f32_e32 v89, 0x3f3d2fb0, v89
	v_sub_f32_e32 v85, v85, v152
	v_add_f32_e32 v93, v93, v4
	v_mul_f32_e32 v165, 0x3dbcf732, v91
	v_mul_f32_e32 v177, 0xbf7ba420, v91
	;; [unrolled: 1-line block ×5, first 2 shown]
	v_fma_f32 v151, 0xbf7ba420, v112, -v185
	v_add_f32_e32 v90, v162, v90
	v_add_f32_e32 v85, v85, v93
	v_sub_f32_e32 v89, v89, v158
	v_mul_f32_e32 v99, 0xbe8c1d8e, v94
	v_mul_f32_e32 v152, 0xbf59a7d5, v94
	v_add_f32_e32 v151, v151, v84
	v_add_f32_e32 v84, v90, v86
	v_mul_f32_e32 v86, 0xbf7ba420, v95
	v_mul_f32_e32 v93, 0x3f3d2fb0, v94
	;; [unrolled: 1-line block ×4, first 2 shown]
	v_add_f32_e32 v85, v89, v85
	v_sub_f32_e32 v91, v91, v157
	v_add_f32_e32 v86, v161, v86
	v_mul_f32_e32 v89, 0x3dbcf732, v97
	v_sub_f32_e32 v94, v94, v156
	v_add_f32_e32 v139, v139, v168
	v_add_f32_e32 v85, v91, v85
	;; [unrolled: 1-line block ×4, first 2 shown]
	v_mul_f32_e32 v91, 0x3f6eb680, v113
	v_add_f32_e32 v116, v140, v116
	v_add_f32_e32 v85, v94, v85
	v_mul_f32_e32 v94, 0x3dbcf732, v96
	v_add_f32_e32 v84, v86, v84
	v_add_f32_e32 v86, v159, v91
	v_add_f32_e32 v139, v139, v5
	v_mul_f32_e32 v162, 0xbe8c1d8e, v95
	v_sub_f32_e32 v94, v94, v154
	v_mul_f32_e32 v185, 0xbf59a7d5, v95
	v_add_f32_e32 v168, v86, v84
	v_add_f32_e32 v86, v116, v139
	;; [unrolled: 1-line block ×4, first 2 shown]
	v_mul_f32_e32 v94, 0x3f6eb680, v112
	v_mul_f32_e32 v158, 0x3f3d2fb0, v95
	;; [unrolled: 1-line block ×3, first 2 shown]
	v_add_f32_e32 v86, v116, v86
	v_mul_f32_e32 v116, 0xbf7ba420, v115
	v_sub_f32_e32 v94, v94, v153
	v_add_f32_e32 v87, v142, v87
	v_mul_f32_e32 v153, 0x3f6eb680, v115
	v_mul_f32_e32 v164, 0xbf59a7d5, v115
	v_sub_f32_e32 v134, v144, v134
	v_mul_f32_e32 v144, 0x3f3d2fb0, v115
	v_fma_f32 v149, 0x3dbcf732, v115, -v149
	v_fma_f32 v190, 0x3ee437d1, v115, -v190
	v_mul_f32_e32 v115, 0xbf1a4643, v115
	v_mul_f32_e32 v161, 0xbf1a4643, v97
	;; [unrolled: 1-line block ×5, first 2 shown]
	v_add_f32_e32 v94, v94, v84
	v_add_f32_e32 v87, v87, v86
	;; [unrolled: 1-line block ×3, first 2 shown]
	v_sub_f32_e32 v115, v115, v148
	v_add_f32_e32 v134, v134, v4
	v_sub_f32_e32 v135, v167, v135
	v_mul_f32_e32 v154, 0xbf59a7d5, v113
	v_mul_f32_e32 v192, 0x3ee437d1, v113
	;; [unrolled: 1-line block ×5, first 2 shown]
	v_add_f32_e32 v95, v95, v87
	v_add_f32_e32 v97, v138, v97
	;; [unrolled: 1-line block ×5, first 2 shown]
	v_sub_f32_e32 v121, v176, v128
	v_mul_f32_e32 v142, 0xbf7ba420, v117
	v_add_f32_e32 v141, v155, v141
	v_mul_f32_e32 v155, 0x3f6eb680, v117
	v_mul_f32_e32 v143, 0xbf59a7d5, v117
	v_mul_f32_e32 v117, 0x3f3d2fb0, v117
	v_add_f32_e32 v95, v97, v95
	v_add_f32_e32 v97, v137, v113
	;; [unrolled: 1-line block ×5, first 2 shown]
	v_sub_f32_e32 v121, v180, v130
	v_mul_f32_e32 v157, 0xbf1a4643, v96
	v_mul_f32_e32 v89, 0xbe8c1d8e, v96
	v_mul_f32_e32 v160, 0x3f6eb680, v96
	v_mul_f32_e32 v96, 0xbf59a7d5, v96
	v_add_f32_e32 v95, v97, v95
	v_add_f32_e32 v97, v145, v117
	;; [unrolled: 1-line block ×5, first 2 shown]
	v_sub_f32_e32 v117, v90, v132
	v_sub_f32_e32 v92, v92, v102
	v_mul_f32_e32 v159, 0xbf59a7d5, v112
	v_mul_f32_e32 v140, 0x3ee437d1, v112
	;; [unrolled: 1-line block ×4, first 2 shown]
	v_add_f32_e32 v90, v97, v95
	v_add_f32_e32 v94, v113, v94
	;; [unrolled: 1-line block ×4, first 2 shown]
	v_sub_f32_e32 v96, v96, v129
	v_add_f32_e32 v92, v92, v4
	v_sub_f32_e32 v102, v174, v108
	v_add_f32_e32 v94, v95, v94
	v_add_f32_e32 v95, v119, v158
	;; [unrolled: 1-line block ×3, first 2 shown]
	v_sub_f32_e32 v97, v112, v131
	v_add_f32_e32 v92, v102, v92
	v_sub_f32_e32 v102, v172, v109
	v_add_f32_e32 v61, v61, v186
	v_add_f32_e32 v94, v95, v94
	;; [unrolled: 1-line block ×3, first 2 shown]
	v_sub_f32_e32 v96, v163, v98
	v_add_f32_e32 v92, v102, v92
	v_add_f32_e32 v61, v61, v5
	;; [unrolled: 1-line block ×3, first 2 shown]
	v_sub_f32_e32 v93, v93, v110
	v_sub_f32_e32 v59, v183, v59
	v_add_f32_e32 v92, v96, v92
	v_add_f32_e32 v7, v7, v5
	;; [unrolled: 1-line block ×6, first 2 shown]
	v_sub_f32_e32 v92, v160, v111
	v_add_f32_e32 v59, v59, v4
	v_add_f32_e32 v61, v66, v61
	;; [unrolled: 1-line block ×3, first 2 shown]
	v_sub_f32_e32 v75, v85, v100
	v_add_f32_e32 v71, v92, v71
	v_sub_f32_e32 v63, v169, v63
	v_add_f32_e32 v7, v25, v7
	v_add_f32_e32 v61, v66, v61
	v_add_f32_e32 v66, v80, v185
	v_add_f32_e32 v71, v75, v71
	v_sub_f32_e32 v75, v164, v101
	v_add_f32_e32 v80, v81, v156
	v_add_f32_e32 v6, v24, v6
	v_add_f32_e32 v61, v66, v61
	v_add_f32_e32 v59, v63, v59
	v_add_f32_e32 v66, v75, v71
	v_add_f32_e32 v71, v83, v192
	v_sub_f32_e32 v63, v125, v67
	v_add_f32_e32 v61, v80, v61
	v_add_f32_e32 v24, v82, v155
	;; [unrolled: 7-line block ×4, first 2 shown]
	v_add_f32_e32 v5, v24, v5
	v_add_f32_e32 v24, v54, v150
	;; [unrolled: 1-line block ×3, first 2 shown]
	v_sub_f32_e32 v59, v89, v73
	v_add_f32_e32 v7, v29, v7
	v_sub_f32_e32 v27, v140, v76
	v_add_f32_e32 v5, v24, v5
	v_add_f32_e32 v24, v28, v26
	;; [unrolled: 1-line block ×8, first 2 shown]
	v_sub_f32_e32 v27, v181, v50
	v_add_f32_e32 v7, v21, v7
	v_sub_f32_e32 v21, v170, v55
	v_add_f32_e32 v20, v20, v24
	v_add_f32_e32 v5, v26, v5
	;; [unrolled: 1-line block ×3, first 2 shown]
	v_sub_f32_e32 v27, v188, v53
	v_add_f32_e32 v7, v23, v7
	v_add_f32_e32 v20, v22, v20
	;; [unrolled: 1-line block ×10, first 2 shown]
	v_sub_f32_e32 v21, v165, v57
	v_add_f32_e32 v7, v19, v7
	v_add_f32_e32 v16, v18, v16
	v_sub_f32_e32 v20, v99, v60
	v_add_f32_e32 v182, v204, v182
	v_add_f32_e32 v4, v21, v4
	;; [unrolled: 1-line block ×7, first 2 shown]
	v_sub_f32_e32 v13, v157, v64
	v_add_f32_e32 v7, v15, v7
	v_add_f32_e32 v12, v14, v12
	;; [unrolled: 1-line block ×7, first 2 shown]
	v_sub_f32_e32 v13, v159, v68
	v_add_f32_e32 v7, v9, v7
	v_add_f32_e32 v8, v8, v12
	v_mul_lo_u16 v9, v106, 17
	v_add_f32_e32 v91, v91, v94
	v_add_f32_e32 v94, v124, v139
	;; [unrolled: 1-line block ×6, first 2 shown]
	v_sub_f32_e32 v12, v116, v77
	v_add_f32_e32 v11, v11, v7
	v_add_f32_e32 v10, v10, v8
	v_and_b32_e32 v9, 0xffff, v9
	v_add_f32_e32 v91, v94, v91
	v_add_f32_e32 v93, v126, v143
	v_sub_f32_e32 v16, v153, v79
	v_sub_f32_e32 v96, v144, v136
	v_add_f32_e32 v182, v210, v182
	v_add_f32_e32 v8, v14, v5
	;; [unrolled: 1-line block ×5, first 2 shown]
	v_add_lshl_u32 v4, v52, v9, 3
	v_add_f32_e32 v67, v93, v91
	v_add_f32_e32 v5, v16, v25
	;; [unrolled: 1-line block ×8, first 2 shown]
	ds_write2_b64 v4, v[0:1], v[7:8] offset1:1
	ds_write2_b64 v4, v[5:6], v[66:67] offset0:2 offset1:3
	ds_write2_b64 v4, v[89:90], v[87:88] offset0:4 offset1:5
	;; [unrolled: 1-line block ×7, first 2 shown]
	ds_write_b64 v4, v[2:3] offset:128
.LBB0_7:
	s_or_b32 exec_lo, exec_lo, s0
	v_add_lshl_u32 v108, v52, v106, 3
	s_waitcnt lgkmcnt(0)
	s_barrier
	buffer_gl0_inv
	v_cmp_gt_u16_e64 s0, 34, v106
	v_add_nc_u32_e32 v0, 0xc00, v108
	v_add_nc_u32_e32 v1, 0x1000, v108
	;; [unrolled: 1-line block ×4, first 2 shown]
	ds_read2_b64 v[20:23], v108 offset1:68
	ds_read2_b64 v[24:27], v108 offset0:136 offset1:238
	ds_read2_b64 v[48:51], v0 offset0:92 offset1:160
	;; [unrolled: 1-line block ×5, first 2 shown]
	s_and_saveexec_b32 s1, s0
	s_cbranch_execz .LBB0_9
; %bb.8:
	v_add_nc_u32_e32 v0, 0x600, v108
	v_add_nc_u32_e32 v1, 0x1500, v108
	ds_read2_b64 v[40:43], v0 offset0:12 offset1:250
	ds_read2_b64 v[36:39], v1 offset0:8 offset1:246
.LBB0_9:
	s_or_b32 exec_lo, exec_lo, s1
	v_add_nc_u16 v53, v106, 0xcc
	v_mov_b32_e32 v54, 0xf0f1
	v_and_b32_e32 v0, 0xff, v106
	v_add_nc_u16 v4, v106, 0x44
	v_add_nc_u16 v55, v106, 0x88
	v_mul_u32_u24_sdwa v56, v53, v54 dst_sel:DWORD dst_unused:UNUSED_PAD src0_sel:WORD_0 src1_sel:DWORD
	v_mul_lo_u16 v0, 0xf1, v0
	v_and_b32_e32 v1, 0xff, v4
	v_and_b32_e32 v57, 0xff, v55
	v_lshrrev_b32_e32 v61, 20, v56
	v_lshrrev_b16 v60, 12, v0
	v_mul_lo_u16 v1, 0xf1, v1
	v_mul_lo_u16 v5, v61, 17
	;; [unrolled: 1-line block ×3, first 2 shown]
	v_lshrrev_b16 v64, 12, v1
	v_sub_nc_u16 v62, v53, v5
	v_mul_lo_u16 v5, 0xf1, v57
	v_sub_nc_u16 v0, v106, v0
	v_mul_lo_u16 v6, v62, 24
	v_lshrrev_b16 v65, 12, v5
	v_mul_lo_u16 v5, v64, 17
	v_and_b32_e32 v63, 0xff, v0
	v_mad_u16 v110, 0x44, v61, v62
	v_and_b32_e32 v6, 0xffff, v6
	v_mul_lo_u16 v7, v65, 17
	v_sub_nc_u16 v4, v4, v5
	v_mad_u64_u32 v[0:1], null, v63, 24, s[2:3]
	v_add_co_u32 v8, s1, s2, v6
	v_sub_nc_u16 v10, v55, v7
	v_and_b32_e32 v66, 0xff, v4
	v_add_co_ci_u32_e64 v9, null, s3, 0, s1
	s_clause 0x1
	global_load_dwordx4 v[16:19], v[0:1], off
	global_load_dwordx2 v[79:80], v[0:1], off offset:16
	v_and_b32_e32 v67, 0xff, v10
	v_mad_u64_u32 v[0:1], null, v66, 24, s[2:3]
	s_clause 0x1
	global_load_dwordx4 v[4:7], v[8:9], off
	global_load_dwordx2 v[73:74], v[8:9], off offset:16
	v_mad_u64_u32 v[58:59], null, v67, 24, s[2:3]
	s_clause 0x3
	global_load_dwordx4 v[12:15], v[0:1], off
	global_load_dwordx2 v[77:78], v[0:1], off offset:16
	global_load_dwordx4 v[8:11], v[58:59], off
	global_load_dwordx2 v[75:76], v[58:59], off offset:16
	v_mov_b32_e32 v0, 0x44
	s_load_dwordx4 s[4:7], s[6:7], 0x0
	s_waitcnt vmcnt(0) lgkmcnt(0)
	s_barrier
	buffer_gl0_inv
	v_mul_u32_u24_sdwa v1, v60, v0 dst_sel:DWORD dst_unused:UNUSED_PAD src0_sel:WORD_0 src1_sel:DWORD
	v_mul_u32_u24_sdwa v58, v64, v0 dst_sel:DWORD dst_unused:UNUSED_PAD src0_sel:WORD_0 src1_sel:DWORD
	;; [unrolled: 1-line block ×3, first 2 shown]
	v_add_nc_u32_e32 v1, v1, v63
	v_add_nc_u32_e32 v58, v58, v66
	;; [unrolled: 1-line block ×3, first 2 shown]
	v_add_lshl_u32 v113, v52, v1, 3
	v_add_lshl_u32 v112, v52, v58, 3
	;; [unrolled: 1-line block ×3, first 2 shown]
	v_mul_f32_e32 v0, v27, v17
	v_mul_f32_e32 v1, v26, v17
	;; [unrolled: 1-line block ×12, first 2 shown]
	v_fma_f32 v0, v26, v16, -v0
	v_fmac_f32_e32 v1, v27, v16
	v_fma_f32 v26, v48, v18, -v58
	v_fmac_f32_e32 v59, v49, v18
	;; [unrolled: 2-line block ×3, first 2 shown]
	v_mul_f32_e32 v30, v45, v13
	v_mul_f32_e32 v48, v44, v13
	;; [unrolled: 1-line block ×12, first 2 shown]
	v_fma_f32 v42, v42, v4, -v62
	v_fmac_f32_e32 v63, v43, v4
	v_fma_f32 v36, v36, v6, -v64
	v_fmac_f32_e32 v65, v37, v6
	;; [unrolled: 2-line block ×6, first 2 shown]
	v_fmac_f32_e32 v71, v29, v10
	v_fma_f32 v33, v34, v75, -v81
	v_sub_f32_e32 v34, v20, v26
	v_sub_f32_e32 v29, v0, v27
	v_fma_f32 v39, v46, v8, -v68
	v_fmac_f32_e32 v69, v47, v8
	v_fma_f32 v32, v28, v10, -v70
	v_fmac_f32_e32 v82, v35, v75
	v_sub_f32_e32 v35, v21, v59
	v_sub_f32_e32 v28, v1, v61
	;; [unrolled: 1-line block ×6, first 2 shown]
	v_fma_f32 v43, v20, 2.0, -v34
	v_fma_f32 v45, v0, 2.0, -v29
	v_sub_f32_e32 v50, v22, v30
	v_sub_f32_e32 v49, v23, v49
	;; [unrolled: 1-line block ×8, first 2 shown]
	v_fma_f32 v44, v21, 2.0, -v35
	v_fma_f32 v46, v1, 2.0, -v28
	;; [unrolled: 1-line block ×6, first 2 shown]
	v_sub_f32_e32 v0, v26, v37
	v_add_f32_e32 v1, v27, v36
	v_sub_f32_e32 v30, v43, v45
	v_fma_f32 v45, v22, 2.0, -v50
	v_fma_f32 v62, v23, 2.0, -v49
	;; [unrolled: 1-line block ×4, first 2 shown]
	v_sub_f32_e32 v22, v50, v51
	v_fma_f32 v48, v24, 2.0, -v58
	v_fma_f32 v51, v25, 2.0, -v59
	;; [unrolled: 1-line block ×4, first 2 shown]
	v_sub_f32_e32 v28, v34, v28
	v_add_f32_e32 v29, v35, v29
	v_sub_f32_e32 v31, v44, v46
	v_add_f32_e32 v23, v49, v47
	v_sub_f32_e32 v36, v45, v36
	v_sub_f32_e32 v37, v62, v37
	v_sub_f32_e32 v24, v58, v61
	v_add_f32_e32 v25, v59, v60
	v_sub_f32_e32 v46, v20, v40
	v_sub_f32_e32 v47, v21, v41
	v_sub_f32_e32 v40, v48, v42
	v_sub_f32_e32 v41, v51, v63
	v_fma_f32 v32, v34, 2.0, -v28
	v_fma_f32 v33, v35, 2.0, -v29
	;; [unrolled: 1-line block ×12, first 2 shown]
	ds_write2_b64 v113, v[30:31], v[28:29] offset0:34 offset1:51
	ds_write2_b64 v113, v[34:35], v[32:33] offset1:17
	ds_write2_b64 v112, v[36:37], v[22:23] offset0:34 offset1:51
	ds_write2_b64 v112, v[44:45], v[38:39] offset1:17
	ds_write2_b64 v111, v[48:49], v[42:43] offset1:17
	ds_write2_b64 v111, v[40:41], v[24:25] offset0:34 offset1:51
	s_and_saveexec_b32 s1, s0
	s_cbranch_execz .LBB0_11
; %bb.10:
	v_and_b32_e32 v24, 0xffff, v110
	v_fma_f32 v23, v27, 2.0, -v1
	v_fma_f32 v22, v26, 2.0, -v0
	;; [unrolled: 1-line block ×4, first 2 shown]
	v_add_lshl_u32 v24, v52, v24, 3
	ds_write2_b64 v24, v[20:21], v[22:23] offset1:17
	ds_write2_b64 v24, v[46:47], v[0:1] offset0:34 offset1:51
.LBB0_11:
	s_or_b32 exec_lo, exec_lo, s1
	v_mul_lo_u16 v20, 0x79, v57
	v_add_nc_u32_e32 v21, 0x110, v106
	v_add_nc_u32_e32 v22, 0x154, v106
	;; [unrolled: 1-line block ×3, first 2 shown]
	v_lshrrev_b32_e32 v24, 22, v56
	v_lshrrev_b16 v20, 13, v20
	v_mul_u32_u24_sdwa v25, v21, v54 dst_sel:DWORD dst_unused:UNUSED_PAD src0_sel:WORD_0 src1_sel:DWORD
	v_mul_u32_u24_sdwa v26, v22, v54 dst_sel:DWORD dst_unused:UNUSED_PAD src0_sel:WORD_0 src1_sel:DWORD
	v_mul_u32_u24_sdwa v27, v23, v54 dst_sel:DWORD dst_unused:UNUSED_PAD src0_sel:WORD_0 src1_sel:DWORD
	v_mul_lo_u16 v24, 0x44, v24
	v_mul_lo_u16 v20, 0x44, v20
	s_waitcnt lgkmcnt(0)
	s_barrier
	buffer_gl0_inv
	global_load_dwordx2 v[81:82], v105, s[2:3] offset:408
	v_lshrrev_b32_e32 v25, 22, v25
	v_sub_nc_u16 v20, v55, v20
	v_lshrrev_b32_e32 v26, 22, v26
	v_sub_nc_u16 v24, v53, v24
	v_lshrrev_b32_e32 v27, 22, v27
	v_mul_lo_u16 v25, 0x44, v25
	v_and_b32_e32 v32, 0xff, v20
	v_mul_lo_u16 v20, 0x44, v26
	v_and_b32_e32 v33, 0xffff, v24
	v_mul_lo_u16 v24, 0x44, v27
	v_sub_nc_u16 v21, v21, v25
	v_lshlrev_b32_e32 v25, 3, v32
	v_sub_nc_u16 v20, v22, v20
	v_lshlrev_b32_e32 v22, 3, v33
	v_sub_nc_u16 v23, v23, v24
	v_and_b32_e32 v53, 0xffff, v21
	global_load_dwordx2 v[91:92], v25, s[2:3] offset:408
	v_and_b32_e32 v54, 0xffff, v20
	global_load_dwordx2 v[89:90], v22, s[2:3] offset:408
	v_and_b32_e32 v55, 0xffff, v23
	v_lshlrev_b32_e32 v20, 3, v53
	v_add_nc_u32_e32 v56, 0xc00, v108
	v_lshlrev_b32_e32 v21, 3, v54
	v_add_nc_u32_e32 v57, 0x400, v108
	v_lshlrev_b32_e32 v22, 3, v55
	s_clause 0x2
	global_load_dwordx2 v[87:88], v20, s[2:3] offset:408
	global_load_dwordx2 v[85:86], v21, s[2:3] offset:408
	global_load_dwordx2 v[83:84], v22, s[2:3] offset:408
	ds_read2_b64 v[20:23], v108 offset1:68
	ds_read2_b64 v[24:27], v56 offset0:92 offset1:160
	ds_read_b64 v[44:45], v108 offset:1088
	ds_read_b64 v[48:49], v108 offset:4896
	v_add_nc_u32_e32 v60, 0x1000, v108
	v_add_nc_u32_e32 v58, 0x800, v108
	;; [unrolled: 1-line block ×3, first 2 shown]
	v_add_lshl_u32 v117, v52, v33, 3
	v_add_lshl_u32 v119, v52, v32, 3
	;; [unrolled: 1-line block ×5, first 2 shown]
	ds_read2_b64 v[28:31], v57 offset0:76 offset1:144
	ds_read2_b64 v[32:35], v60 offset0:168 offset1:236
	;; [unrolled: 1-line block ×4, first 2 shown]
	s_waitcnt vmcnt(0) lgkmcnt(0)
	s_barrier
	buffer_gl0_inv
	v_mad_u64_u32 v[50:51], null, v106, 48, s[2:3]
	v_add_nc_u32_e32 v61, 0x800, v119
	v_add_nc_u32_e32 v59, 0x800, v117
	;; [unrolled: 1-line block ×3, first 2 shown]
	v_lshl_add_u32 v114, v106, 3, v107
	v_add_nc_u32_e32 v95, 0x800, v109
	v_add_nc_u32_e32 v96, 0xc00, v109
	;; [unrolled: 1-line block ×5, first 2 shown]
	v_mul_f32_e32 v52, v25, v82
	v_mul_f32_e32 v53, v24, v82
	;; [unrolled: 1-line block ×4, first 2 shown]
	v_fma_f32 v24, v24, v81, -v52
	v_fmac_f32_e32 v53, v25, v81
	v_fma_f32 v26, v26, v81, -v54
	v_fmac_f32_e32 v55, v27, v81
	v_add_nc_u32_e32 v52, 0x1000, v118
	v_sub_f32_e32 v24, v20, v24
	v_sub_f32_e32 v25, v21, v53
	;; [unrolled: 1-line block ×4, first 2 shown]
	v_add_nc_u32_e32 v53, 0x1000, v116
	v_fma_f32 v20, v20, 2.0, -v24
	v_fma_f32 v21, v21, 2.0, -v25
	;; [unrolled: 1-line block ×4, first 2 shown]
	v_add_nc_u32_e32 v54, 0x1800, v115
	ds_write2_b64 v108, v[20:21], v[24:25] offset1:68
	v_mul_f32_e32 v24, v33, v90
	v_mul_f32_e32 v25, v32, v90
	;; [unrolled: 1-line block ×4, first 2 shown]
	ds_write2_b64 v108, v[22:23], v[26:27] offset0:136 offset1:204
	v_fma_f32 v22, v32, v89, -v24
	v_fmac_f32_e32 v25, v33, v89
	v_mul_f32_e32 v23, v35, v88
	v_mul_f32_e32 v32, v34, v88
	;; [unrolled: 1-line block ×4, first 2 shown]
	v_fma_f32 v20, v48, v91, -v20
	v_mul_f32_e32 v26, v43, v84
	v_mul_f32_e32 v48, v42, v84
	v_fmac_f32_e32 v21, v49, v91
	v_fma_f32 v34, v34, v87, -v23
	v_fmac_f32_e32 v32, v35, v87
	v_sub_f32_e32 v22, v28, v22
	v_sub_f32_e32 v23, v29, v25
	v_fma_f32 v35, v40, v85, -v24
	v_fmac_f32_e32 v33, v41, v85
	v_fma_f32 v40, v42, v83, -v26
	v_fmac_f32_e32 v48, v43, v83
	v_sub_f32_e32 v20, v44, v20
	v_sub_f32_e32 v21, v45, v21
	v_fma_f32 v26, v28, 2.0, -v22
	v_fma_f32 v27, v29, 2.0, -v23
	v_sub_f32_e32 v28, v30, v34
	v_sub_f32_e32 v29, v31, v32
	;; [unrolled: 1-line block ×6, first 2 shown]
	v_fma_f32 v24, v44, 2.0, -v20
	v_fma_f32 v25, v45, 2.0, -v21
	;; [unrolled: 1-line block ×8, first 2 shown]
	ds_write2_b64 v61, v[24:25], v[20:21] offset0:16 offset1:84
	ds_write2_b64 v59, v[26:27], v[22:23] offset0:152 offset1:220
	;; [unrolled: 1-line block ×5, first 2 shown]
	v_add_co_u32 v20, s1, 0x1000, v50
	v_add_co_ci_u32_e64 v21, s1, 0, v51, s1
	v_add_co_u32 v22, s1, 0x1078, v50
	v_add_co_ci_u32_e64 v23, s1, 0, v51, s1
	s_waitcnt lgkmcnt(0)
	s_barrier
	buffer_gl0_inv
	s_clause 0x5
	global_load_dwordx4 v[36:39], v[50:51], off offset:952
	global_load_dwordx4 v[28:31], v[50:51], off offset:968
	;; [unrolled: 1-line block ×6, first 2 shown]
	ds_read_b64 v[44:45], v108 offset:1088
	ds_read2_b64 v[48:51], v57 offset0:76 offset1:144
	ds_read2_b64 v[52:55], v58 offset0:84 offset1:152
	;; [unrolled: 1-line block ×5, first 2 shown]
	ds_read_b64 v[93:94], v108 offset:4896
	ds_read2_b64 v[68:71], v108 offset1:68
	s_waitcnt vmcnt(5) lgkmcnt(7)
	v_mul_f32_e32 v100, v45, v37
	v_mul_f32_e32 v101, v44, v37
	s_waitcnt lgkmcnt(6)
	v_mul_f32_e32 v102, v51, v39
	v_mul_f32_e32 v120, v50, v39
	s_waitcnt vmcnt(4) lgkmcnt(5)
	v_mul_f32_e32 v121, v55, v29
	v_mul_f32_e32 v122, v54, v29
	s_waitcnt lgkmcnt(4)
	v_mul_f32_e32 v123, v59, v31
	v_mul_f32_e32 v124, v58, v31
	;; [unrolled: 6-line block ×3, first 2 shown]
	s_waitcnt vmcnt(2)
	v_mul_f32_e32 v129, v49, v33
	v_mul_f32_e32 v130, v48, v33
	;; [unrolled: 1-line block ×4, first 2 shown]
	s_waitcnt vmcnt(1)
	v_mul_f32_e32 v133, v57, v25
	v_mul_f32_e32 v134, v56, v25
	s_waitcnt vmcnt(0)
	v_mul_f32_e32 v137, v63, v21
	v_mul_f32_e32 v138, v62, v21
	;; [unrolled: 1-line block ×4, first 2 shown]
	s_waitcnt lgkmcnt(1)
	v_mul_f32_e32 v135, v94, v27
	v_mul_f32_e32 v136, v93, v27
	v_fma_f32 v44, v44, v36, -v100
	v_fmac_f32_e32 v101, v45, v36
	v_fma_f32 v45, v50, v38, -v102
	v_fmac_f32_e32 v120, v51, v38
	;; [unrolled: 2-line block ×12, first 2 shown]
	v_add_f32_e32 v58, v44, v55
	v_add_f32_e32 v59, v101, v128
	v_sub_f32_e32 v44, v44, v55
	v_sub_f32_e32 v55, v101, v128
	v_add_f32_e32 v60, v45, v54
	v_add_f32_e32 v61, v120, v126
	v_sub_f32_e32 v45, v45, v54
	v_sub_f32_e32 v54, v120, v126
	;; [unrolled: 4-line block ×3, first 2 shown]
	v_add_f32_e32 v64, v48, v57
	v_add_f32_e32 v65, v130, v140
	;; [unrolled: 1-line block ×4, first 2 shown]
	v_sub_f32_e32 v48, v48, v57
	v_sub_f32_e32 v57, v130, v140
	;; [unrolled: 1-line block ×4, first 2 shown]
	v_add_f32_e32 v93, v52, v53
	v_add_f32_e32 v94, v134, v136
	v_sub_f32_e32 v52, v53, v52
	v_sub_f32_e32 v53, v136, v134
	v_add_f32_e32 v100, v60, v58
	v_add_f32_e32 v101, v61, v59
	v_sub_f32_e32 v102, v60, v58
	v_sub_f32_e32 v120, v61, v59
	;; [unrolled: 1-line block ×6, first 2 shown]
	v_add_f32_e32 v121, v50, v45
	v_add_f32_e32 v122, v51, v54
	v_sub_f32_e32 v123, v50, v45
	v_sub_f32_e32 v124, v51, v54
	;; [unrolled: 1-line block ×4, first 2 shown]
	v_add_f32_e32 v125, v66, v64
	v_add_f32_e32 v126, v67, v65
	v_sub_f32_e32 v50, v44, v50
	v_sub_f32_e32 v51, v55, v51
	;; [unrolled: 1-line block ×8, first 2 shown]
	v_add_f32_e32 v129, v52, v49
	v_add_f32_e32 v130, v53, v56
	v_sub_f32_e32 v131, v52, v49
	v_sub_f32_e32 v132, v53, v56
	;; [unrolled: 1-line block ×4, first 2 shown]
	v_add_f32_e32 v62, v62, v100
	v_add_f32_e32 v63, v63, v101
	v_add_f32_e32 v44, v121, v44
	v_add_f32_e32 v55, v122, v55
	v_mul_f32_e32 v49, 0x3f4a47b2, v58
	v_mul_f32_e32 v58, 0x3f4a47b2, v59
	;; [unrolled: 1-line block ×8, first 2 shown]
	v_add_f32_e32 v124, v93, v125
	v_add_f32_e32 v125, v94, v126
	v_sub_f32_e32 v52, v48, v52
	v_sub_f32_e32 v53, v57, v53
	v_add_f32_e32 v126, v129, v48
	v_add_f32_e32 v57, v130, v57
	v_mul_f32_e32 v64, 0x3f4a47b2, v64
	v_mul_f32_e32 v65, 0x3f4a47b2, v65
	;; [unrolled: 1-line block ×8, first 2 shown]
	s_waitcnt lgkmcnt(0)
	v_add_f32_e32 v93, v68, v62
	v_add_f32_e32 v94, v69, v63
	v_fmamk_f32 v60, v60, 0x3d64c772, v49
	v_fma_f32 v59, 0x3f3bfb3b, v102, -v59
	v_fma_f32 v68, 0x3f3bfb3b, v120, -v100
	;; [unrolled: 1-line block ×3, first 2 shown]
	v_fmamk_f32 v100, v50, 0x3eae86e6, v101
	v_fmamk_f32 v102, v51, 0x3eae86e6, v121
	v_fma_f32 v45, 0x3f5ff5aa, v45, -v101
	v_fma_f32 v54, 0x3f5ff5aa, v54, -v121
	;; [unrolled: 1-line block ×4, first 2 shown]
	v_add_f32_e32 v48, v70, v124
	v_add_f32_e32 v49, v71, v125
	v_fmamk_f32 v61, v61, 0x3d64c772, v58
	v_fma_f32 v58, 0xbf3bfb3b, v120, -v58
	v_fmamk_f32 v66, v66, 0x3d64c772, v64
	v_fmamk_f32 v67, v67, 0x3d64c772, v65
	v_fma_f32 v70, 0x3f3bfb3b, v127, -v129
	v_fma_f32 v71, 0x3f3bfb3b, v128, -v130
	;; [unrolled: 1-line block ×4, first 2 shown]
	v_fmamk_f32 v101, v52, 0x3eae86e6, v131
	v_fmamk_f32 v120, v53, 0x3eae86e6, v132
	v_fma_f32 v121, 0x3f5ff5aa, v133, -v131
	v_fma_f32 v122, 0x3f5ff5aa, v56, -v132
	;; [unrolled: 1-line block ×4, first 2 shown]
	v_fmamk_f32 v52, v62, 0xbf955555, v93
	v_fmamk_f32 v53, v63, 0xbf955555, v94
	v_fmac_f32_e32 v100, 0x3ee1c552, v44
	v_fmac_f32_e32 v102, 0x3ee1c552, v55
	;; [unrolled: 1-line block ×6, first 2 shown]
	v_fmamk_f32 v44, v124, 0xbf955555, v48
	v_fmamk_f32 v55, v125, 0xbf955555, v49
	v_fmac_f32_e32 v101, 0x3ee1c552, v126
	v_fmac_f32_e32 v120, 0x3ee1c552, v57
	;; [unrolled: 1-line block ×6, first 2 shown]
	v_add_f32_e32 v56, v60, v52
	v_add_f32_e32 v57, v61, v53
	;; [unrolled: 1-line block ×13, first 2 shown]
	v_sub_f32_e32 v65, v57, v100
	v_add_f32_e32 v66, v51, v52
	v_sub_f32_e32 v67, v53, v50
	v_sub_f32_e32 v60, v59, v54
	v_add_f32_e32 v61, v45, v63
	v_add_f32_e32 v62, v54, v59
	v_sub_f32_e32 v63, v63, v45
	v_sub_f32_e32 v68, v52, v51
	v_add_f32_e32 v69, v50, v53
	v_sub_f32_e32 v70, v56, v102
	v_add_f32_e32 v71, v100, v57
	v_add_f32_e32 v50, v120, v124
	v_sub_f32_e32 v51, v125, v101
	v_add_f32_e32 v56, v127, v44
	v_sub_f32_e32 v57, v55, v123
	v_sub_f32_e32 v58, v126, v122
	v_add_f32_e32 v59, v121, v128
	v_add_f32_e32 v52, v122, v126
	v_sub_f32_e32 v53, v128, v121
	v_sub_f32_e32 v54, v44, v127
	v_add_f32_e32 v55, v123, v55
	v_sub_f32_e32 v44, v124, v120
	v_add_f32_e32 v45, v101, v125
	ds_write_b64 v114, v[93:94]
	ds_write2_b64 v109, v[48:49], v[64:65] offset0:68 offset1:136
	ds_write2_b64 v99, v[50:51], v[66:67] offset0:76 offset1:144
	;; [unrolled: 1-line block ×6, first 2 shown]
	ds_write_b64 v109, v[44:45] offset:7072
	s_waitcnt lgkmcnt(0)
	s_barrier
	buffer_gl0_inv
	s_and_saveexec_b32 s8, vcc_lo
	s_cbranch_execz .LBB0_13
; %bb.12:
	s_add_u32 s2, s12, 0x1dc0
	s_addc_u32 s3, s13, 0
	v_add_co_u32 v122, s1, s2, v105
	s_clause 0x2
	global_load_dwordx2 v[99:100], v105, s[2:3]
	global_load_dwordx2 v[148:149], v105, s[2:3] offset:448
	global_load_dwordx2 v[150:151], v105, s[2:3] offset:896
	v_add_co_ci_u32_e64 v123, null, s3, 0, s1
	v_add_co_u32 v101, s1, 0x800, v122
	v_or_b32_e32 v124, 0xe00, v105
	v_add_co_ci_u32_e64 v102, s1, 0, v123, s1
	v_add_co_u32 v120, s1, 0x1000, v122
	v_add_co_ci_u32_e64 v121, s1, 0, v123, s1
	s_clause 0x8
	global_load_dwordx2 v[152:153], v105, s[2:3] offset:1344
	global_load_dwordx2 v[154:155], v105, s[2:3] offset:1792
	global_load_dwordx2 v[156:157], v[101:102], off offset:192
	global_load_dwordx2 v[158:159], v[101:102], off offset:640
	;; [unrolled: 1-line block ×3, first 2 shown]
	global_load_dwordx2 v[162:163], v124, s[2:3]
	global_load_dwordx2 v[164:165], v[101:102], off offset:1984
	global_load_dwordx2 v[166:167], v[120:121], off offset:384
	;; [unrolled: 1-line block ×3, first 2 shown]
	v_add_co_u32 v101, s1, 0x1800, v122
	v_add_co_ci_u32_e64 v102, s1, 0, v123, s1
	s_clause 0x1
	global_load_dwordx2 v[170:171], v[120:121], off offset:1280
	global_load_dwordx2 v[172:173], v[120:121], off offset:1728
	v_or_b32_e32 v120, 0x1c00, v105
	s_clause 0x2
	global_load_dwordx2 v[174:175], v[101:102], off offset:128
	global_load_dwordx2 v[176:177], v[101:102], off offset:576
	global_load_dwordx2 v[178:179], v120, s[2:3]
	ds_read_b64 v[101:102], v114
	v_add_nc_u32_e32 v181, 0x1800, v109
	s_waitcnt vmcnt(16) lgkmcnt(0)
	v_mul_f32_e32 v120, v102, v100
	v_mul_f32_e32 v121, v101, v100
	v_fma_f32 v120, v101, v99, -v120
	v_fmac_f32_e32 v121, v102, v99
	ds_write_b64 v114, v[120:121]
	ds_read2_b64 v[99:102], v109 offset0:56 offset1:112
	ds_read2_b64 v[120:123], v109 offset0:168 offset1:224
	;; [unrolled: 1-line block ×8, first 2 shown]
	s_waitcnt vmcnt(15) lgkmcnt(7)
	v_mul_f32_e32 v182, v100, v149
	v_mul_f32_e32 v180, v99, v149
	s_waitcnt vmcnt(14)
	v_mul_f32_e32 v183, v102, v151
	v_mul_f32_e32 v149, v101, v151
	s_waitcnt vmcnt(13) lgkmcnt(6)
	v_mul_f32_e32 v184, v121, v153
	v_mul_f32_e32 v151, v120, v153
	s_waitcnt vmcnt(12)
	v_mul_f32_e32 v185, v123, v155
	v_mul_f32_e32 v153, v122, v155
	;; [unrolled: 6-line block ×8, first 2 shown]
	v_fma_f32 v179, v99, v148, -v182
	v_fmac_f32_e32 v180, v100, v148
	v_fma_f32 v148, v101, v150, -v183
	v_fmac_f32_e32 v149, v102, v150
	;; [unrolled: 2-line block ×16, first 2 shown]
	ds_write2_b64 v109, v[179:180], v[148:149] offset0:56 offset1:112
	ds_write2_b64 v109, v[150:151], v[152:153] offset0:168 offset1:224
	;; [unrolled: 1-line block ×8, first 2 shown]
.LBB0_13:
	s_or_b32 exec_lo, exec_lo, s8
	s_waitcnt lgkmcnt(0)
	s_barrier
	buffer_gl0_inv
	s_and_saveexec_b32 s1, vcc_lo
	s_cbranch_execz .LBB0_15
; %bb.14:
	v_add_nc_u32_e32 v0, 0x800, v114
	v_add_nc_u32_e32 v1, 0xc00, v114
	;; [unrolled: 1-line block ×5, first 2 shown]
	ds_read_b64 v[93:94], v114
	ds_read2_b64 v[64:67], v114 offset0:56 offset1:112
	ds_read2_b64 v[60:63], v114 offset0:168 offset1:224
	;; [unrolled: 1-line block ×8, first 2 shown]
.LBB0_15:
	s_or_b32 exec_lo, exec_lo, s1
	s_waitcnt lgkmcnt(0)
	v_sub_f32_e32 v133, v65, v3
	v_add_f32_e32 v137, v3, v65
	v_add_f32_e32 v123, v2, v64
	v_sub_f32_e32 v124, v64, v2
	v_sub_f32_e32 v141, v67, v1
	v_mul_f32_e32 v125, 0xbf2c7751, v133
	v_mul_f32_e32 v128, 0x3f3d2fb0, v137
	v_add_f32_e32 v146, v1, v67
	v_mul_f32_e32 v147, 0xbf65296c, v133
	v_mul_f32_e32 v150, 0x3ee437d1, v137
	;; [unrolled: 1-line block ×3, first 2 shown]
	v_fma_f32 v95, 0x3f3d2fb0, v123, -v125
	v_fmamk_f32 v96, v124, 0xbf2c7751, v128
	v_add_f32_e32 v120, v0, v66
	v_mul_f32_e32 v122, 0xbf7ee86f, v141
	v_sub_f32_e32 v121, v66, v0
	v_mul_f32_e32 v126, 0x3dbcf732, v146
	v_mul_f32_e32 v131, 0x3dbcf732, v137
	v_fma_f32 v97, 0x3ee437d1, v123, -v147
	v_fmamk_f32 v98, v124, 0xbf65296c, v150
	v_fma_f32 v99, 0x3dbcf732, v123, -v130
	v_add_f32_e32 v95, v93, v95
	v_add_f32_e32 v96, v94, v96
	v_mul_f32_e32 v166, 0xbf763a35, v133
	v_mul_f32_e32 v173, 0xbe8c1d8e, v137
	;; [unrolled: 1-line block ×3, first 2 shown]
	v_fma_f32 v127, 0x3dbcf732, v120, -v122
	v_fmamk_f32 v129, v121, 0xbf7ee86f, v126
	v_mul_f32_e32 v163, 0xbf1a4643, v146
	v_mul_f32_e32 v136, 0xbe3c28d5, v141
	v_fmamk_f32 v100, v124, 0xbf7ee86f, v131
	v_add_f32_e32 v97, v93, v97
	v_add_f32_e32 v98, v94, v98
	;; [unrolled: 1-line block ×3, first 2 shown]
	v_fma_f32 v101, 0xbe8c1d8e, v123, -v166
	v_fmamk_f32 v102, v124, 0xbf763a35, v173
	v_fma_f32 v132, 0xbf1a4643, v120, -v158
	v_add_f32_e32 v95, v127, v95
	v_add_f32_e32 v96, v129, v96
	v_mul_f32_e32 v139, 0xbf7ba420, v146
	v_fmamk_f32 v127, v121, 0xbf4c4adb, v163
	v_mul_f32_e32 v178, 0x3f06c442, v141
	v_fma_f32 v129, 0xbf7ba420, v120, -v136
	v_mul_f32_e32 v181, 0xbf59a7d5, v146
	v_add_f32_e32 v100, v94, v100
	v_add_f32_e32 v101, v93, v101
	;; [unrolled: 1-line block ×4, first 2 shown]
	v_fmamk_f32 v132, v121, 0xbe3c28d5, v139
	v_add_f32_e32 v98, v127, v98
	v_fma_f32 v127, 0xbf59a7d5, v120, -v178
	v_add_f32_e32 v99, v129, v99
	v_fmamk_f32 v129, v121, 0x3f06c442, v181
	v_sub_f32_e32 v151, v61, v47
	v_add_f32_e32 v156, v47, v61
	v_add_f32_e32 v100, v132, v100
	;; [unrolled: 1-line block ×5, first 2 shown]
	v_mul_f32_e32 v132, 0xbf4c4adb, v151
	v_sub_f32_e32 v129, v60, v46
	v_mul_f32_e32 v135, 0xbf1a4643, v156
	v_mul_f32_e32 v174, 0xbf7ba420, v156
	;; [unrolled: 1-line block ×3, first 2 shown]
	v_fma_f32 v134, 0xbf1a4643, v127, -v132
	v_mul_f32_e32 v148, 0xbe8c1d8e, v156
	v_fmamk_f32 v138, v129, 0xbf4c4adb, v135
	v_mul_f32_e32 v167, 0x3e3c28d5, v151
	v_fmamk_f32 v142, v129, 0x3e3c28d5, v174
	v_add_f32_e32 v95, v134, v95
	v_fma_f32 v134, 0xbe8c1d8e, v127, -v143
	v_add_f32_e32 v96, v138, v96
	v_sub_f32_e32 v161, v63, v45
	v_mul_f32_e32 v189, 0x3f2c7751, v151
	v_mul_f32_e32 v193, 0x3f3d2fb0, v156
	v_fmamk_f32 v138, v129, 0x3f763a35, v148
	v_add_f32_e32 v169, v45, v63
	v_fma_f32 v140, 0xbf7ba420, v127, -v167
	v_add_f32_e32 v98, v142, v98
	v_add_f32_e32 v99, v134, v99
	;; [unrolled: 1-line block ×3, first 2 shown]
	v_fma_f32 v142, 0x3f3d2fb0, v127, -v189
	v_fmamk_f32 v144, v129, 0x3f2c7751, v193
	v_add_f32_e32 v100, v138, v100
	v_sub_f32_e32 v138, v62, v44
	v_mul_f32_e32 v145, 0xbf7ba420, v169
	v_mul_f32_e32 v183, 0x3f763a35, v161
	;; [unrolled: 1-line block ×3, first 2 shown]
	v_add_f32_e32 v97, v140, v97
	v_mul_f32_e32 v140, 0xbe3c28d5, v161
	v_add_f32_e32 v101, v142, v101
	v_add_f32_e32 v102, v144, v102
	v_fmamk_f32 v142, v138, 0xbe3c28d5, v145
	v_mul_f32_e32 v157, 0x3f6eb680, v169
	v_fma_f32 v144, 0xbe8c1d8e, v134, -v183
	v_fma_f32 v152, 0x3f6eb680, v134, -v153
	v_mul_f32_e32 v196, 0xbf65296c, v161
	v_add_f32_e32 v180, v55, v69
	v_fma_f32 v149, 0xbf7ba420, v134, -v140
	v_mul_f32_e32 v185, 0xbe8c1d8e, v169
	v_add_f32_e32 v96, v142, v96
	v_fmamk_f32 v142, v138, 0x3eb8f4ab, v157
	v_add_f32_e32 v97, v144, v97
	v_add_f32_e32 v99, v152, v99
	v_sub_f32_e32 v175, v69, v55
	v_mul_f32_e32 v200, 0x3ee437d1, v169
	v_fma_f32 v152, 0x3ee437d1, v134, -v196
	v_sub_f32_e32 v144, v68, v54
	v_mul_f32_e32 v154, 0xbf59a7d5, v180
	v_add_f32_e32 v95, v149, v95
	v_fmamk_f32 v149, v138, 0x3f763a35, v185
	v_add_f32_e32 v100, v142, v100
	v_add_f32_e32 v142, v54, v68
	v_fmamk_f32 v155, v138, 0xbf65296c, v200
	v_mul_f32_e32 v190, 0x3f2c7751, v175
	v_add_f32_e32 v101, v152, v101
	v_fmamk_f32 v152, v144, 0x3f06c442, v154
	v_mul_f32_e32 v195, 0x3f3d2fb0, v180
	v_add_f32_e32 v98, v149, v98
	v_mul_f32_e32 v149, 0x3f06c442, v175
	v_add_f32_e32 v102, v155, v102
	v_fma_f32 v155, 0x3f3d2fb0, v142, -v190
	v_add_f32_e32 v96, v152, v96
	v_mul_f32_e32 v165, 0xbf65296c, v175
	v_fmamk_f32 v152, v144, 0x3f2c7751, v195
	v_mul_f32_e32 v204, 0xbe3c28d5, v175
	v_fma_f32 v159, 0xbf59a7d5, v142, -v149
	v_add_f32_e32 v97, v155, v97
	v_mul_f32_e32 v170, 0x3ee437d1, v180
	v_fma_f32 v155, 0x3ee437d1, v142, -v165
	v_mul_f32_e32 v205, 0xbf7ba420, v180
	v_add_f32_e32 v98, v152, v98
	v_fma_f32 v152, 0xbf7ba420, v142, -v204
	v_sub_f32_e32 v186, v71, v53
	v_add_f32_e32 v95, v159, v95
	v_fmamk_f32 v159, v144, 0xbf65296c, v170
	v_add_f32_e32 v99, v155, v99
	v_fmamk_f32 v155, v144, 0xbe3c28d5, v205
	v_add_f32_e32 v101, v152, v101
	v_add_f32_e32 v191, v53, v71
	;; [unrolled: 1-line block ×3, first 2 shown]
	v_mul_f32_e32 v160, 0x3f763a35, v186
	v_add_f32_e32 v100, v159, v100
	v_add_f32_e32 v102, v155, v102
	v_sub_f32_e32 v155, v70, v52
	v_mul_f32_e32 v164, 0xbe8c1d8e, v191
	v_mul_f32_e32 v199, 0xbeb8f4ab, v186
	v_fma_f32 v159, 0xbe8c1d8e, v152, -v160
	v_mul_f32_e32 v176, 0xbf06c442, v186
	v_mul_f32_e32 v201, 0x3f6eb680, v191
	v_fmamk_f32 v162, v155, 0x3f763a35, v164
	v_fma_f32 v168, 0x3f6eb680, v152, -v199
	v_add_f32_e32 v95, v159, v95
	v_fma_f32 v159, 0xbf59a7d5, v152, -v176
	v_mul_f32_e32 v184, 0xbf59a7d5, v191
	v_sub_f32_e32 v194, v49, v59
	v_fmamk_f32 v171, v155, 0xbeb8f4ab, v201
	v_add_f32_e32 v96, v162, v96
	v_add_f32_e32 v97, v168, v97
	;; [unrolled: 1-line block ×3, first 2 shown]
	v_mul_f32_e32 v208, 0x3f7ee86f, v186
	v_mul_f32_e32 v210, 0x3dbcf732, v191
	v_fmamk_f32 v162, v155, 0xbf06c442, v184
	v_add_f32_e32 v159, v58, v48
	v_mul_f32_e32 v168, 0x3f65296c, v194
	v_add_f32_e32 v198, v59, v49
	v_add_f32_e32 v98, v171, v98
	v_fma_f32 v171, 0x3dbcf732, v152, -v208
	v_fmamk_f32 v172, v155, 0x3f7ee86f, v210
	v_add_f32_e32 v100, v162, v100
	v_fma_f32 v179, 0x3ee437d1, v159, -v168
	v_sub_f32_e32 v162, v48, v58
	v_mul_f32_e32 v177, 0x3ee437d1, v198
	v_mul_f32_e32 v206, 0xbf7ee86f, v194
	;; [unrolled: 1-line block ×4, first 2 shown]
	v_add_f32_e32 v101, v171, v101
	v_add_f32_e32 v102, v172, v102
	;; [unrolled: 1-line block ×3, first 2 shown]
	v_mul_f32_e32 v188, 0xbf1a4643, v198
	v_fmamk_f32 v171, v162, 0x3f65296c, v177
	v_fma_f32 v172, 0x3dbcf732, v159, -v206
	v_fmamk_f32 v179, v162, 0xbf7ee86f, v207
	v_fma_f32 v182, 0xbf1a4643, v159, -v187
	v_sub_f32_e32 v202, v51, v57
	v_add_f32_e32 v203, v57, v51
	v_fmamk_f32 v192, v162, 0x3f4c4adb, v188
	v_add_f32_e32 v96, v171, v96
	v_add_f32_e32 v97, v172, v97
	v_add_f32_e32 v98, v179, v98
	v_add_f32_e32 v99, v182, v99
	v_mul_f32_e32 v212, 0xbeb8f4ab, v194
	v_mul_f32_e32 v213, 0x3f6eb680, v198
	v_add_f32_e32 v171, v56, v50
	v_sub_f32_e32 v172, v50, v56
	v_mul_f32_e32 v179, 0x3eb8f4ab, v202
	v_mul_f32_e32 v182, 0x3f6eb680, v203
	v_add_f32_e32 v100, v192, v100
	v_fma_f32 v192, 0x3f6eb680, v159, -v212
	v_mul_f32_e32 v209, 0xbf06c442, v202
	v_fmamk_f32 v197, v162, 0xbeb8f4ab, v213
	v_fma_f32 v211, 0x3f6eb680, v171, -v179
	v_fmamk_f32 v214, v172, 0x3eb8f4ab, v182
	v_add_f32_e32 v216, v192, v101
	v_fma_f32 v101, 0xbf59a7d5, v171, -v209
	v_add_f32_e32 v217, v197, v102
	v_add_f32_e32 v95, v211, v95
	;; [unrolled: 1-line block ×3, first 2 shown]
	v_mul_f32_e32 v211, 0xbf59a7d5, v203
	v_mul_f32_e32 v192, 0x3f2c7751, v202
	;; [unrolled: 1-line block ×5, first 2 shown]
	v_add_f32_e32 v97, v101, v97
	v_fmamk_f32 v101, v172, 0xbf06c442, v211
	v_fma_f32 v102, 0x3f3d2fb0, v171, -v192
	v_fmamk_f32 v218, v172, 0x3f2c7751, v197
	v_fma_f32 v219, 0xbf1a4643, v171, -v214
	v_fmamk_f32 v220, v172, 0xbf4c4adb, v215
	v_add_f32_e32 v98, v101, v98
	v_add_f32_e32 v101, v102, v99
	;; [unrolled: 1-line block ×5, first 2 shown]
	s_barrier
	buffer_gl0_inv
	s_and_saveexec_b32 s1, vcc_lo
	s_cbranch_execz .LBB0_17
; %bb.16:
	v_add_f32_e32 v64, v64, v93
	v_add_f32_e32 v65, v65, v94
	v_mul_f32_e32 v216, 0xbf7ee86f, v129
	v_mul_f32_e32 v217, 0x3f4c4adb, v138
	v_mul_f32_e32 v218, 0xbf06c442, v133
	v_add_f32_e32 v64, v66, v64
	v_add_f32_e32 v65, v67, v65
	v_mul_f32_e32 v66, 0xbf2c7751, v155
	v_mul_f32_e32 v67, 0xbe3c28d5, v162
	v_mul_f32_e32 v219, 0x3f65296c, v141
	;; [unrolled: 5-line block ×7, first 2 shown]
	v_add_f32_e32 v48, v50, v48
	v_add_f32_e32 v49, v51, v49
	v_fma_f32 v50, 0x3ee437d1, v120, -v219
	v_mul_f32_e32 v225, 0xbeb8f4ab, v175
	v_mul_f32_e32 v226, 0xbe3c28d5, v186
	v_add_f32_e32 v48, v56, v48
	v_add_f32_e32 v49, v57, v49
	v_mul_f32_e32 v56, 0xbf4c4adb, v124
	v_mul_f32_e32 v57, 0x3f763a35, v121
	v_mul_f32_e32 v227, 0x3f2c7751, v194
	v_add_f32_e32 v48, v58, v48
	v_add_f32_e32 v49, v59, v49
	v_mul_f32_e32 v58, 0xbf4c4adb, v133
	;; [unrolled: 5-line block ×4, first 2 shown]
	v_mul_f32_e32 v55, 0x3f65296c, v121
	v_mul_f32_e32 v53, 0x3eb8f4ab, v121
	v_add_f32_e32 v44, v44, v48
	v_add_f32_e32 v45, v45, v49
	v_fma_f32 v48, 0xbe8c1d8e, v120, -v59
	v_fmac_f32_e32 v59, 0xbe8c1d8e, v120
	v_fmamk_f32 v49, v146, 0x3ee437d1, v55
	v_add_f32_e32 v46, v46, v44
	v_fmamk_f32 v44, v137, 0xbf1a4643, v56
	v_add_f32_e32 v47, v47, v45
	v_fmamk_f32 v45, v146, 0xbe8c1d8e, v57
	v_fma_f32 v56, 0xbf1a4643, v137, -v56
	v_fma_f32 v57, 0xbe8c1d8e, v146, -v57
	v_add_f32_e32 v44, v94, v44
	v_mul_f32_e32 v233, 0x3eb8f4ab, v141
	v_fmamk_f32 v51, v146, 0x3f6eb680, v53
	v_add_f32_e32 v56, v94, v56
	v_mul_f32_e32 v230, 0xbf06c442, v129
	v_add_f32_e32 v44, v45, v44
	v_fma_f32 v45, 0xbf1a4643, v123, -v58
	v_fmac_f32_e32 v58, 0xbf1a4643, v123
	v_add_f32_e32 v56, v57, v56
	v_fma_f32 v57, 0x3f6eb680, v156, -v60
	v_mul_f32_e32 v231, 0x3f2c7751, v138
	v_add_f32_e32 v45, v93, v45
	v_fma_f32 v53, 0x3f6eb680, v146, -v53
	v_fma_f32 v55, 0x3ee437d1, v146, -v55
	v_add_f32_e32 v56, v57, v56
	v_fma_f32 v57, 0xbf59a7d5, v169, -v62
	v_add_f32_e32 v45, v48, v45
	v_fmamk_f32 v48, v156, 0x3f6eb680, v60
	v_mul_f32_e32 v60, 0xbe8c1d8e, v123
	v_fma_f32 v234, 0x3f6eb680, v120, -v233
	v_add_f32_e32 v56, v57, v56
	v_add_f32_e32 v57, v93, v58
	;; [unrolled: 1-line block ×3, first 2 shown]
	v_fma_f32 v48, 0x3f6eb680, v127, -v61
	v_fmac_f32_e32 v61, 0x3f6eb680, v127
	v_fma_f32 v58, 0x3dbcf732, v180, -v64
	v_add_f32_e32 v57, v59, v57
	v_mul_f32_e32 v59, 0x3f06c442, v121
	v_add_f32_e32 v45, v48, v45
	v_fmamk_f32 v48, v169, 0xbf59a7d5, v62
	v_add_f32_e32 v56, v58, v56
	v_add_f32_e32 v57, v61, v57
	v_fma_f32 v58, 0x3f3d2fb0, v191, -v66
	v_sub_f32_e32 v59, v181, v59
	v_add_f32_e32 v44, v48, v44
	v_fma_f32 v48, 0xbf59a7d5, v134, -v63
	v_fmac_f32_e32 v63, 0xbf59a7d5, v134
	v_add_f32_e32 v56, v58, v56
	v_fma_f32 v58, 0xbf7ba420, v198, -v67
	v_add_f32_e32 v60, v60, v166
	v_add_f32_e32 v45, v48, v45
	v_fmamk_f32 v48, v180, 0x3dbcf732, v64
	v_add_f32_e32 v57, v63, v57
	v_add_f32_e32 v56, v58, v56
	v_mul_f32_e32 v61, 0xbf59a7d5, v120
	v_add_f32_e32 v60, v93, v60
	v_add_f32_e32 v44, v48, v44
	v_fma_f32 v48, 0x3dbcf732, v142, -v65
	v_fmac_f32_e32 v65, 0x3dbcf732, v142
	v_add_f32_e32 v61, v61, v178
	v_mul_f32_e32 v63, 0xbf1a4643, v120
	v_fmac_f32_e32 v219, 0x3ee437d1, v120
	v_add_f32_e32 v45, v48, v45
	v_fmamk_f32 v48, v191, 0x3f3d2fb0, v66
	v_add_f32_e32 v57, v65, v57
	v_add_f32_e32 v60, v61, v60
	v_mul_f32_e32 v61, 0x3f3d2fb0, v127
	v_add_f32_e32 v63, v63, v158
	v_add_f32_e32 v44, v48, v44
	v_fmamk_f32 v48, v198, 0xbf7ba420, v67
	v_mul_f32_e32 v65, 0x3f3d2fb0, v146
	v_add_f32_e32 v61, v61, v189
	v_mul_f32_e32 v66, 0x3ee437d1, v156
	v_mul_f32_e32 v67, 0x3dbcf732, v169
	v_add_f32_e32 v44, v48, v44
	v_fma_f32 v48, 0x3f3d2fb0, v152, -v68
	v_fmac_f32_e32 v68, 0x3f3d2fb0, v152
	v_add_f32_e32 v60, v61, v60
	v_mul_f32_e32 v61, 0x3ee437d1, v134
	v_mul_f32_e32 v158, 0xbe3c28d5, v202
	v_add_f32_e32 v45, v48, v45
	v_fma_f32 v48, 0xbf7ba420, v159, -v69
	v_add_f32_e32 v57, v68, v57
	v_fmac_f32_e32 v69, 0xbf7ba420, v159
	v_add_f32_e32 v61, v61, v196
	v_mul_f32_e32 v68, 0xbe8c1d8e, v180
	v_add_f32_e32 v48, v48, v45
	v_fmamk_f32 v45, v203, 0x3ee437d1, v70
	v_add_f32_e32 v58, v69, v57
	v_fma_f32 v57, 0x3ee437d1, v203, -v70
	v_mul_f32_e32 v69, 0xbf1a4643, v191
	v_mul_f32_e32 v70, 0xbeb8f4ab, v133
	v_add_f32_e32 v45, v45, v44
	v_fma_f32 v44, 0x3ee437d1, v171, -v71
	v_fmac_f32_e32 v71, 0x3ee437d1, v171
	v_add_f32_e32 v57, v57, v56
	v_fmac_f32_e32 v233, 0x3f6eb680, v120
	v_mul_f32_e32 v243, 0x3f7ee86f, v172
	v_add_f32_e32 v44, v44, v48
	v_add_f32_e32 v56, v71, v58
	v_mul_f32_e32 v58, 0xbf763a35, v124
	v_fmamk_f32 v48, v137, 0xbf59a7d5, v54
	v_mul_f32_e32 v71, 0xbf2c7751, v141
	v_fma_f32 v54, 0xbf59a7d5, v137, -v54
	v_add_f32_e32 v1, v1, v47
	v_sub_f32_e32 v58, v173, v58
	v_add_f32_e32 v48, v94, v48
	v_fmamk_f32 v133, v120, 0x3f3d2fb0, v71
	v_add_f32_e32 v54, v94, v54
	v_fma_f32 v71, 0x3f3d2fb0, v120, -v71
	v_add_f32_e32 v58, v94, v58
	v_add_f32_e32 v48, v49, v48
	v_fmamk_f32 v49, v156, 0x3dbcf732, v216
	v_add_f32_e32 v54, v55, v54
	v_fma_f32 v55, 0x3dbcf732, v156, -v216
	v_add_f32_e32 v58, v59, v58
	v_mul_f32_e32 v59, 0x3f2c7751, v129
	v_add_f32_e32 v48, v49, v48
	v_fmamk_f32 v49, v169, 0xbf1a4643, v217
	v_add_f32_e32 v54, v55, v54
	v_fma_f32 v55, 0xbf1a4643, v169, -v217
	v_sub_f32_e32 v59, v193, v59
	v_fma_f32 v216, 0x3f6eb680, v180, -v220
	v_add_f32_e32 v48, v49, v48
	v_fma_f32 v49, 0xbf59a7d5, v123, -v218
	v_fmac_f32_e32 v218, 0xbf59a7d5, v123
	v_add_f32_e32 v58, v59, v58
	v_mul_f32_e32 v59, 0xbf65296c, v138
	v_add_f32_e32 v54, v55, v54
	v_add_f32_e32 v49, v93, v49
	;; [unrolled: 1-line block ×4, first 2 shown]
	v_sub_f32_e32 v59, v200, v59
	v_add_f32_e32 v54, v216, v54
	v_add_f32_e32 v49, v50, v49
	v_fmamk_f32 v50, v180, 0x3f6eb680, v220
	v_add_f32_e32 v55, v219, v55
	v_add_f32_e32 v58, v59, v58
	v_mul_f32_e32 v59, 0xbe3c28d5, v144
	v_fma_f32 v216, 0xbf7ba420, v191, -v222
	v_add_f32_e32 v48, v50, v48
	v_fma_f32 v50, 0x3dbcf732, v127, -v221
	v_fmac_f32_e32 v221, 0x3dbcf732, v127
	v_sub_f32_e32 v59, v205, v59
	v_mul_lo_u16 v46, v106, 17
	v_add_f32_e32 v54, v216, v54
	v_add_f32_e32 v49, v50, v49
	v_fmamk_f32 v50, v191, 0xbf7ba420, v222
	v_add_f32_e32 v58, v59, v58
	v_mul_f32_e32 v59, 0x3f7ee86f, v155
	v_add_f32_e32 v55, v221, v55
	v_fma_f32 v216, 0x3f3d2fb0, v198, -v224
	v_add_f32_e32 v48, v50, v48
	v_fma_f32 v50, 0xbf1a4643, v134, -v223
	v_sub_f32_e32 v59, v210, v59
	v_fmac_f32_e32 v223, 0xbf1a4643, v134
	v_mul_f32_e32 v244, 0x3f7ee86f, v202
	v_add_f32_e32 v1, v3, v1
	v_add_f32_e32 v49, v50, v49
	v_add_f32_e32 v58, v59, v58
	v_add_f32_e32 v59, v61, v60
	v_mul_f32_e32 v60, 0xbf7ba420, v142
	v_mul_f32_e32 v61, 0xbeb8f4ab, v162
	v_fmamk_f32 v50, v198, 0x3f3d2fb0, v224
	v_add_f32_e32 v55, v223, v55
	v_add_f32_e32 v0, v2, v0
	v_add_f32_e32 v60, v60, v204
	v_sub_f32_e32 v61, v213, v61
	v_add_f32_e32 v48, v50, v48
	v_fma_f32 v50, 0x3f6eb680, v142, -v225
	v_fmac_f32_e32 v225, 0x3f6eb680, v142
	v_add_f32_e32 v59, v60, v59
	v_mul_f32_e32 v60, 0x3dbcf732, v152
	v_add_f32_e32 v58, v61, v58
	v_mul_f32_e32 v61, 0xbf4c4adb, v172
	v_add_f32_e32 v49, v50, v49
	v_fma_f32 v50, 0xbf7ba420, v152, -v226
	v_add_f32_e32 v60, v60, v208
	v_add_f32_e32 v55, v225, v55
	v_sub_f32_e32 v61, v215, v61
	v_fmac_f32_e32 v226, 0xbf7ba420, v152
	v_add_f32_e32 v49, v50, v49
	v_add_f32_e32 v59, v60, v59
	v_mul_f32_e32 v60, 0x3f6eb680, v159
	v_fma_f32 v50, 0x3f3d2fb0, v159, -v227
	v_add_f32_e32 v55, v226, v55
	v_fmac_f32_e32 v227, 0x3f3d2fb0, v159
	v_and_b32_e32 v2, 0xffff, v46
	v_add_f32_e32 v60, v60, v212
	v_add_f32_e32 v50, v50, v49
	v_fmamk_f32 v49, v203, 0xbe8c1d8e, v228
	v_add_f32_e32 v54, v216, v54
	v_add_f32_e32 v216, v227, v55
	;; [unrolled: 1-line block ×3, first 2 shown]
	v_mul_f32_e32 v59, 0xbf1a4643, v171
	v_add_f32_e32 v49, v49, v48
	v_fma_f32 v48, 0xbe8c1d8e, v171, -v229
	v_fma_f32 v55, 0xbe8c1d8e, v203, -v228
	v_fmac_f32_e32 v229, 0xbe8c1d8e, v171
	v_add_f32_e32 v62, v59, v214
	v_add_f32_e32 v59, v61, v58
	v_mul_f32_e32 v61, 0xbf4c4adb, v121
	v_add_f32_e32 v48, v48, v50
	v_fmamk_f32 v50, v137, 0xbf7ba420, v52
	v_add_f32_e32 v58, v62, v60
	v_mul_f32_e32 v60, 0xbf65296c, v124
	v_sub_f32_e32 v61, v163, v61
	v_mul_f32_e32 v62, 0x3ee437d1, v123
	v_fma_f32 v52, 0xbf7ba420, v137, -v52
	v_add_f32_e32 v50, v94, v50
	v_sub_f32_e32 v60, v150, v60
	v_add_f32_e32 v55, v55, v54
	v_add_f32_e32 v62, v62, v147
	;; [unrolled: 1-line block ×5, first 2 shown]
	v_fmamk_f32 v51, v156, 0xbf59a7d5, v230
	v_add_f32_e32 v62, v93, v62
	v_add_f32_e32 v52, v53, v52
	v_fma_f32 v53, 0xbf59a7d5, v156, -v230
	v_add_f32_e32 v60, v61, v60
	v_mul_f32_e32 v61, 0x3e3c28d5, v129
	v_add_f32_e32 v62, v63, v62
	v_mul_f32_e32 v63, 0xbf7ba420, v127
	v_add_f32_e32 v50, v51, v50
	v_fmamk_f32 v51, v169, 0x3f3d2fb0, v231
	v_sub_f32_e32 v61, v174, v61
	v_mul_f32_e32 v156, 0xbf7ba420, v203
	v_add_f32_e32 v63, v63, v167
	v_add_f32_e32 v52, v53, v52
	;; [unrolled: 1-line block ×4, first 2 shown]
	v_mul_f32_e32 v61, 0x3f763a35, v138
	v_add_f32_e32 v62, v63, v62
	v_mul_f32_e32 v63, 0xbe8c1d8e, v134
	v_fma_f32 v51, 0xbf7ba420, v123, -v232
	v_fma_f32 v53, 0x3f3d2fb0, v169, -v231
	v_sub_f32_e32 v61, v185, v61
	v_fmac_f32_e32 v232, 0xbf7ba420, v123
	v_add_f32_e32 v63, v63, v183
	v_add_f32_e32 v51, v93, v51
	;; [unrolled: 1-line block ×4, first 2 shown]
	v_mul_f32_e32 v61, 0x3f2c7751, v144
	v_add_f32_e32 v53, v93, v232
	v_add_f32_e32 v51, v234, v51
	v_mul_f32_e32 v234, 0xbf4c4adb, v144
	v_add_f32_e32 v54, v229, v216
	v_sub_f32_e32 v61, v195, v61
	v_add_f32_e32 v53, v233, v53
	v_fmamk_f32 v235, v180, 0xbf1a4643, v234
	v_fma_f32 v230, 0xbf1a4643, v180, -v234
	v_add_f32_e32 v60, v61, v60
	v_mul_f32_e32 v61, 0xbeb8f4ab, v155
	v_add_f32_e32 v50, v235, v50
	v_mul_f32_e32 v235, 0xbf06c442, v151
	v_add_f32_e32 v52, v230, v52
	v_sub_f32_e32 v61, v201, v61
	v_fma_f32 v236, 0xbf59a7d5, v127, -v235
	v_fmac_f32_e32 v235, 0xbf59a7d5, v127
	v_add_f32_e32 v60, v61, v60
	v_add_f32_e32 v61, v63, v62
	v_mul_f32_e32 v62, 0x3f3d2fb0, v142
	v_mul_f32_e32 v63, 0xbf7ee86f, v162
	v_add_f32_e32 v51, v236, v51
	v_mul_f32_e32 v236, 0x3f65296c, v155
	v_add_f32_e32 v53, v235, v53
	v_add_f32_e32 v62, v62, v190
	v_sub_f32_e32 v63, v207, v63
	v_fmamk_f32 v237, v191, 0x3ee437d1, v236
	v_fma_f32 v230, 0x3ee437d1, v191, -v236
	v_add_f32_e32 v61, v62, v61
	v_mul_f32_e32 v62, 0x3f6eb680, v152
	v_add_f32_e32 v60, v63, v60
	v_mul_f32_e32 v63, 0xbf06c442, v172
	;; [unrolled: 2-line block ×3, first 2 shown]
	v_add_f32_e32 v62, v62, v199
	v_add_f32_e32 v52, v230, v52
	v_sub_f32_e32 v63, v211, v63
	v_fma_f32 v238, 0x3f3d2fb0, v134, -v237
	v_add_f32_e32 v61, v62, v61
	v_mul_f32_e32 v62, 0x3dbcf732, v159
	v_fmac_f32_e32 v237, 0x3f3d2fb0, v134
	v_add_f32_e32 v51, v238, v51
	v_mul_f32_e32 v238, 0xbf763a35, v162
	v_add_f32_e32 v62, v62, v206
	v_add_f32_e32 v53, v237, v53
	v_fmamk_f32 v239, v198, 0xbe8c1d8e, v238
	v_add_f32_e32 v62, v62, v61
	v_mul_f32_e32 v61, 0xbf59a7d5, v171
	v_fma_f32 v230, 0xbe8c1d8e, v198, -v238
	v_add_f32_e32 v50, v239, v50
	v_mul_f32_e32 v239, 0xbf4c4adb, v175
	v_add_f32_e32 v64, v61, v209
	v_add_f32_e32 v61, v63, v60
	v_fmamk_f32 v63, v121, 0x3f2c7751, v65
	v_fmac_f32_e32 v65, 0xbf2c7751, v121
	v_fma_f32 v240, 0xbf1a4643, v142, -v239
	v_add_f32_e32 v60, v64, v62
	v_mul_f32_e32 v64, 0x3f6eb680, v137
	v_fmac_f32_e32 v239, 0xbf1a4643, v142
	v_add_f32_e32 v52, v230, v52
	v_add_f32_e32 v51, v240, v51
	v_mul_f32_e32 v240, 0x3f65296c, v186
	v_fmamk_f32 v62, v124, 0x3eb8f4ab, v64
	v_fmac_f32_e32 v64, 0xbeb8f4ab, v124
	v_add_f32_e32 v53, v239, v53
	v_fma_f32 v241, 0x3ee437d1, v152, -v240
	v_add_f32_e32 v62, v94, v62
	v_add_f32_e32 v64, v94, v64
	v_fmac_f32_e32 v240, 0x3ee437d1, v152
	v_add_f32_e32 v51, v241, v51
	v_add_f32_e32 v62, v63, v62
	v_fmamk_f32 v63, v129, 0x3f65296c, v66
	v_add_f32_e32 v64, v65, v64
	v_fmac_f32_e32 v66, 0xbf65296c, v129
	v_mul_f32_e32 v241, 0xbf763a35, v194
	v_add_f32_e32 v53, v240, v53
	v_add_f32_e32 v62, v63, v62
	v_fmamk_f32 v63, v138, 0x3f7ee86f, v67
	v_add_f32_e32 v64, v66, v64
	v_fmac_f32_e32 v67, 0xbf7ee86f, v138
	v_mul_f32_e32 v66, 0x3ee437d1, v159
	v_fma_f32 v242, 0xbe8c1d8e, v159, -v241
	v_add_f32_e32 v62, v63, v62
	v_fmamk_f32 v63, v144, 0x3f763a35, v68
	v_add_f32_e32 v64, v67, v64
	v_fmac_f32_e32 v68, 0xbf763a35, v144
	v_add_f32_e32 v66, v66, v168
	v_mul_f32_e32 v67, 0x3eb8f4ab, v172
	v_add_f32_e32 v62, v63, v62
	v_fmamk_f32 v63, v155, 0x3f4c4adb, v69
	v_add_f32_e32 v64, v68, v64
	v_fmac_f32_e32 v69, 0xbf4c4adb, v155
	v_add_f32_e32 v242, v242, v51
	v_fmamk_f32 v51, v203, 0x3dbcf732, v243
	v_add_f32_e32 v62, v63, v62
	v_fmamk_f32 v63, v123, 0x3f6eb680, v70
	v_fma_f32 v70, 0x3f6eb680, v123, -v70
	v_fmac_f32_e32 v241, 0xbe8c1d8e, v159
	v_add_f32_e32 v64, v69, v64
	v_sub_f32_e32 v67, v182, v67
	v_add_f32_e32 v63, v93, v63
	v_add_f32_e32 v70, v93, v70
	;; [unrolled: 1-line block ×3, first 2 shown]
	v_fma_f32 v50, 0x3dbcf732, v171, -v244
	v_add_f32_e32 v230, v241, v53
	v_add_f32_e32 v63, v133, v63
	v_mul_f32_e32 v133, 0xbf65296c, v151
	v_add_f32_e32 v70, v71, v70
	v_fma_f32 v53, 0x3dbcf732, v203, -v243
	v_fmac_f32_e32 v244, 0x3dbcf732, v171
	v_fma_f32 v69, 0xbf7ba420, v171, -v158
	v_fmamk_f32 v137, v127, 0x3ee437d1, v133
	v_fma_f32 v71, 0x3ee437d1, v127, -v133
	v_add_f32_e32 v50, v50, v242
	v_add_f32_e32 v53, v53, v52
	;; [unrolled: 1-line block ×4, first 2 shown]
	v_mul_f32_e32 v137, 0xbf7ee86f, v161
	v_add_f32_e32 v70, v71, v70
	v_fmamk_f32 v141, v134, 0x3dbcf732, v137
	v_fma_f32 v71, 0x3dbcf732, v134, -v137
	v_add_f32_e32 v63, v141, v63
	v_mul_f32_e32 v141, 0xbf59a7d5, v198
	v_add_f32_e32 v70, v71, v70
	v_fmamk_f32 v146, v162, 0x3f06c442, v141
	v_fmac_f32_e32 v141, 0xbf06c442, v162
	v_add_f32_e32 v62, v146, v62
	v_mul_f32_e32 v146, 0xbf763a35, v175
	v_add_f32_e32 v46, v141, v64
	v_fmamk_f32 v147, v142, 0xbe8c1d8e, v146
	v_fma_f32 v71, 0xbe8c1d8e, v142, -v146
	v_add_f32_e32 v63, v147, v63
	v_mul_f32_e32 v147, 0xbf4c4adb, v186
	v_add_f32_e32 v70, v71, v70
	v_fmamk_f32 v150, v152, 0xbf1a4643, v147
	v_fma_f32 v71, 0xbf1a4643, v152, -v147
	v_add_f32_e32 v63, v150, v63
	v_mul_f32_e32 v150, 0xbf06c442, v194
	v_add_f32_e32 v47, v71, v70
	v_lshl_add_u32 v70, v2, 3, v107
	v_fmamk_f32 v151, v159, 0xbf59a7d5, v150
	v_fma_f32 v3, 0xbf59a7d5, v159, -v150
	v_add_f32_e32 v151, v151, v63
	v_fmamk_f32 v63, v172, 0x3e3c28d5, v156
	v_fmac_f32_e32 v156, 0xbe3c28d5, v172
	v_add_f32_e32 v47, v3, v47
	v_add_f32_e32 v63, v63, v62
	v_fmamk_f32 v62, v171, 0xbf7ba420, v158
	v_add_f32_e32 v3, v156, v46
	v_add_f32_e32 v2, v69, v47
	;; [unrolled: 1-line block ×3, first 2 shown]
	v_mul_f32_e32 v151, 0xbf7ee86f, v124
	v_sub_f32_e32 v131, v131, v151
	v_mul_f32_e32 v151, 0x3dbcf732, v123
	v_add_f32_e32 v130, v151, v130
	v_mul_f32_e32 v151, 0xbf2c7751, v124
	v_add_f32_e32 v124, v93, v130
	v_sub_f32_e32 v128, v128, v151
	v_mul_f32_e32 v151, 0x3f3d2fb0, v123
	v_add_f32_e32 v123, v94, v131
	v_add_f32_e32 v128, v94, v128
	;; [unrolled: 1-line block ×3, first 2 shown]
	v_mul_f32_e32 v94, 0x3f763a35, v129
	v_add_f32_e32 v125, v93, v125
	v_mul_f32_e32 v93, 0xbe3c28d5, v121
	v_sub_f32_e32 v94, v148, v94
	v_sub_f32_e32 v93, v139, v93
	v_add_f32_e32 v93, v93, v123
	v_mul_f32_e32 v123, 0xbf7ba420, v120
	v_add_f32_e32 v93, v94, v93
	v_mul_f32_e32 v94, 0x3eb8f4ab, v138
	v_add_f32_e32 v123, v123, v136
	v_sub_f32_e32 v94, v157, v94
	v_add_f32_e32 v123, v123, v124
	v_mul_f32_e32 v124, 0xbe8c1d8e, v127
	v_add_f32_e32 v93, v94, v93
	v_mul_f32_e32 v94, 0xbf65296c, v144
	v_add_f32_e32 v124, v124, v143
	;; [unrolled: 6-line block ×3, first 2 shown]
	v_sub_f32_e32 v94, v184, v94
	v_add_f32_e32 v93, v94, v93
	v_add_f32_e32 v94, v124, v123
	v_mul_f32_e32 v123, 0x3ee437d1, v142
	v_mul_f32_e32 v124, 0x3f4c4adb, v162
	v_add_f32_e32 v123, v123, v165
	v_sub_f32_e32 v124, v188, v124
	v_add_f32_e32 v94, v123, v94
	v_mul_f32_e32 v123, 0xbf59a7d5, v152
	v_add_f32_e32 v93, v124, v93
	v_mul_f32_e32 v124, 0xbf1a4643, v159
	v_add_f32_e32 v123, v123, v176
	v_add_f32_e32 v124, v124, v187
	;; [unrolled: 1-line block ×3, first 2 shown]
	v_mul_f32_e32 v123, 0xbf7ee86f, v121
	v_mul_f32_e32 v121, 0xbe8c1d8e, v152
	v_add_f32_e32 v94, v124, v94
	v_sub_f32_e32 v123, v126, v123
	v_mul_f32_e32 v126, 0xbf4c4adb, v129
	v_mul_f32_e32 v124, 0xbe3c28d5, v138
	v_add_f32_e32 v121, v121, v160
	v_add_f32_e32 v123, v123, v128
	v_sub_f32_e32 v126, v135, v126
	v_sub_f32_e32 v124, v145, v124
	v_mul_f32_e32 v128, 0x3f2c7751, v172
	v_add_f32_e32 v123, v126, v123
	v_mul_f32_e32 v126, 0x3dbcf732, v120
	v_sub_f32_e32 v128, v197, v128
	v_add_f32_e32 v123, v124, v123
	v_add_f32_e32 v122, v126, v122
	v_mul_f32_e32 v124, 0x3f06c442, v144
	v_mul_f32_e32 v126, 0x3f3d2fb0, v171
	v_add_f32_e32 v122, v122, v125
	v_sub_f32_e32 v124, v154, v124
	v_mul_f32_e32 v125, 0xbf1a4643, v127
	v_add_f32_e32 v126, v126, v192
	v_add_f32_e32 v123, v124, v123
	;; [unrolled: 1-line block ×3, first 2 shown]
	v_mul_f32_e32 v124, 0x3f763a35, v155
	v_add_f32_e32 v64, v126, v94
	v_add_f32_e32 v122, v125, v122
	v_sub_f32_e32 v124, v164, v124
	v_mul_f32_e32 v125, 0xbf7ba420, v134
	v_add_f32_e32 v123, v124, v123
	v_add_f32_e32 v125, v125, v140
	v_mul_f32_e32 v124, 0xbf59a7d5, v142
	v_add_f32_e32 v122, v125, v122
	v_add_f32_e32 v124, v124, v149
	v_mul_f32_e32 v125, 0x3f65296c, v162
	v_add_f32_e32 v122, v124, v122
	v_sub_f32_e32 v125, v177, v125
	v_add_f32_e32 v65, v121, v122
	v_mul_f32_e32 v121, 0x3f6eb680, v171
	v_add_f32_e32 v120, v125, v123
	v_add_f32_e32 v66, v66, v65
	v_add_f32_e32 v68, v121, v179
	v_add_f32_e32 v67, v67, v120
	v_add_f32_e32 v65, v128, v93
	v_add_f32_e32 v66, v68, v66
	ds_write2_b64 v70, v[0:1], v[62:63] offset1:1
	ds_write2_b64 v70, v[66:67], v[60:61] offset0:2 offset1:3
	ds_write2_b64 v70, v[64:65], v[58:59] offset0:4 offset1:5
	;; [unrolled: 1-line block ×7, first 2 shown]
	ds_write_b64 v70, v[2:3] offset:128
.LBB0_17:
	s_or_b32 exec_lo, exec_lo, s1
	v_add_nc_u32_e32 v48, 0xc00, v108
	v_add_nc_u32_e32 v49, 0x1000, v108
	;; [unrolled: 1-line block ×4, first 2 shown]
	s_waitcnt lgkmcnt(0)
	s_barrier
	buffer_gl0_inv
	ds_read2_b64 v[44:47], v108 offset1:68
	ds_read2_b64 v[0:3], v108 offset0:136 offset1:238
	ds_read2_b64 v[60:63], v48 offset0:92 offset1:160
	;; [unrolled: 1-line block ×5, first 2 shown]
	s_and_saveexec_b32 s1, s0
	s_cbranch_execz .LBB0_19
; %bb.18:
	ds_read_b64 v[99:100], v108 offset:1632
	ds_read_b64 v[101:102], v108 offset:3536
	;; [unrolled: 1-line block ×4, first 2 shown]
.LBB0_19:
	s_or_b32 exec_lo, exec_lo, s1
	s_waitcnt lgkmcnt(4)
	v_mul_f32_e32 v65, v17, v3
	v_mul_f32_e32 v17, v17, v2
	s_waitcnt lgkmcnt(3)
	v_mul_f32_e32 v66, v19, v61
	v_mul_f32_e32 v19, v19, v60
	s_waitcnt lgkmcnt(2)
	v_mul_f32_e32 v67, v80, v54
	v_fmac_f32_e32 v65, v16, v2
	v_mul_f32_e32 v2, v80, v55
	v_fma_f32 v3, v16, v3, -v17
	v_fmac_f32_e32 v66, v18, v60
	v_fma_f32 v16, v18, v61, -v19
	s_waitcnt lgkmcnt(1)
	v_mul_f32_e32 v18, v13, v57
	v_fmac_f32_e32 v2, v79, v54
	v_mul_f32_e32 v13, v13, v56
	v_mul_f32_e32 v19, v15, v63
	;; [unrolled: 1-line block ×3, first 2 shown]
	s_waitcnt lgkmcnt(0)
	v_mul_f32_e32 v54, v78, v49
	v_fma_f32 v17, v79, v55, -v67
	v_fmac_f32_e32 v18, v12, v56
	v_fma_f32 v12, v12, v57, -v13
	v_fmac_f32_e32 v19, v14, v62
	;; [unrolled: 2-line block ×3, first 2 shown]
	v_mul_f32_e32 v14, v78, v48
	v_mul_f32_e32 v55, v11, v53
	;; [unrolled: 1-line block ×3, first 2 shown]
	v_sub_f32_e32 v16, v45, v16
	v_mul_f32_e32 v48, v9, v59
	v_mul_f32_e32 v9, v9, v58
	v_fma_f32 v14, v77, v49, -v14
	v_fmac_f32_e32 v55, v10, v52
	v_fma_f32 v52, v10, v53, -v11
	v_sub_f32_e32 v15, v44, v66
	v_mul_f32_e32 v53, v76, v51
	v_sub_f32_e32 v10, v3, v17
	v_mul_f32_e32 v11, v76, v50
	v_fma_f32 v17, v45, 2.0, -v16
	v_sub_f32_e32 v45, v46, v19
	v_sub_f32_e32 v19, v18, v54
	v_fmac_f32_e32 v48, v8, v58
	v_fma_f32 v49, v8, v59, -v9
	v_sub_f32_e32 v9, v65, v2
	v_fma_f32 v8, v44, 2.0, -v15
	v_fmac_f32_e32 v53, v75, v50
	v_fma_f32 v44, v75, v51, -v11
	v_sub_f32_e32 v50, v47, v13
	v_fma_f32 v46, v46, 2.0, -v45
	v_sub_f32_e32 v51, v12, v14
	v_fma_f32 v13, v18, 2.0, -v19
	v_fma_f32 v3, v3, 2.0, -v10
	v_add_f32_e32 v10, v15, v10
	v_sub_f32_e32 v11, v16, v9
	v_fma_f32 v18, v12, 2.0, -v51
	v_sub_f32_e32 v12, v46, v13
	v_fma_f32 v47, v47, 2.0, -v50
	v_fma_f32 v14, v15, 2.0, -v10
	;; [unrolled: 1-line block ×3, first 2 shown]
	v_sub_f32_e32 v54, v0, v55
	v_fma_f32 v16, v46, 2.0, -v12
	v_sub_f32_e32 v52, v1, v52
	v_sub_f32_e32 v53, v48, v53
	;; [unrolled: 1-line block ×3, first 2 shown]
	v_fma_f32 v2, v65, 2.0, -v9
	v_sub_f32_e32 v3, v17, v3
	v_sub_f32_e32 v13, v47, v18
	v_add_f32_e32 v18, v45, v51
	v_fma_f32 v51, v0, 2.0, -v54
	v_fma_f32 v55, v1, 2.0, -v52
	v_fma_f32 v1, v48, 2.0, -v53
	v_fma_f32 v48, v49, 2.0, -v46
	v_sub_f32_e32 v2, v8, v2
	v_sub_f32_e32 v19, v50, v19
	v_fma_f32 v9, v17, 2.0, -v3
	v_fma_f32 v17, v47, 2.0, -v13
	v_fma_f32 v0, v45, 2.0, -v18
	v_sub_f32_e32 v44, v51, v1
	v_sub_f32_e32 v45, v55, v48
	v_add_f32_e32 v46, v54, v46
	v_sub_f32_e32 v47, v52, v53
	v_add_nc_u32_e32 v64, 0x220, v109
	v_fma_f32 v8, v8, 2.0, -v2
	v_fma_f32 v1, v50, 2.0, -v19
	;; [unrolled: 1-line block ×6, first 2 shown]
	s_barrier
	buffer_gl0_inv
	ds_write2_b64 v113, v[8:9], v[14:15] offset1:17
	ds_write2_b64 v113, v[2:3], v[10:11] offset0:34 offset1:51
	ds_write2_b64 v112, v[16:17], v[0:1] offset1:17
	ds_write2_b64 v112, v[12:13], v[18:19] offset0:34 offset1:51
	;; [unrolled: 2-line block ×3, first 2 shown]
	s_and_saveexec_b32 s1, s0
	s_cbranch_execz .LBB0_21
; %bb.20:
	v_mul_f32_e32 v0, v7, v97
	v_mul_f32_e32 v1, v5, v102
	;; [unrolled: 1-line block ×6, first 2 shown]
	v_fma_f32 v0, v6, v98, -v0
	v_fmac_f32_e32 v1, v4, v101
	v_fma_f32 v3, v4, v102, -v3
	v_fma_f32 v4, v73, v96, -v5
	v_fmac_f32_e32 v2, v6, v97
	v_fmac_f32_e32 v7, v73, v95
	v_sub_f32_e32 v5, v100, v0
	v_and_b32_e32 v9, 0xffff, v110
	v_sub_f32_e32 v0, v3, v4
	v_sub_f32_e32 v4, v99, v2
	v_sub_f32_e32 v2, v1, v7
	v_fma_f32 v6, v100, 2.0, -v5
	v_lshl_add_u32 v9, v9, 3, v107
	v_fma_f32 v3, v3, 2.0, -v0
	v_fma_f32 v8, v99, 2.0, -v4
	;; [unrolled: 1-line block ×3, first 2 shown]
	v_sub_f32_e32 v1, v5, v2
	v_add_f32_e32 v0, v4, v0
	v_sub_f32_e32 v3, v6, v3
	v_sub_f32_e32 v2, v8, v7
	v_fma_f32 v5, v5, 2.0, -v1
	v_fma_f32 v4, v4, 2.0, -v0
	;; [unrolled: 1-line block ×4, first 2 shown]
	ds_write2_b64 v9, v[6:7], v[4:5] offset1:17
	ds_write2_b64 v9, v[2:3], v[0:1] offset0:34 offset1:51
.LBB0_21:
	s_or_b32 exec_lo, exec_lo, s1
	v_add_nc_u32_e32 v52, 0xc00, v108
	s_waitcnt lgkmcnt(0)
	s_barrier
	buffer_gl0_inv
	ds_read_b64 v[48:49], v108 offset:4896
	ds_read2_b64 v[0:3], v52 offset0:92 offset1:160
	v_add_nc_u32_e32 v53, 0x1000, v108
	v_add_nc_u32_e32 v54, 0x400, v108
	v_add_nc_u32_e32 v55, 0x1800, v108
	v_add_nc_u32_e32 v56, 0x800, v108
	ds_read2_b64 v[4:7], v53 offset0:168 offset1:236
	ds_read_b64 v[50:51], v108 offset:1088
	ds_read2_b64 v[8:11], v108 offset1:68
	ds_read2_b64 v[12:15], v54 offset0:76 offset1:144
	ds_read2_b64 v[16:19], v55 offset0:48 offset1:116
	ds_read2_b64 v[44:47], v56 offset0:84 offset1:152
	s_waitcnt lgkmcnt(0)
	s_barrier
	buffer_gl0_inv
	v_mul_f32_e32 v57, v92, v49
	v_mul_f32_e32 v58, v92, v48
	;; [unrolled: 1-line block ×6, first 2 shown]
	v_fmac_f32_e32 v57, v91, v48
	v_fma_f32 v48, v91, v49, -v58
	v_mul_f32_e32 v49, v90, v5
	v_fmac_f32_e32 v59, v81, v0
	v_fma_f32 v1, v81, v1, -v60
	v_mul_f32_e32 v0, v88, v6
	v_mul_f32_e32 v58, v90, v4
	v_fmac_f32_e32 v61, v81, v2
	v_fma_f32 v3, v81, v3, -v62
	v_mul_f32_e32 v2, v86, v16
	v_mul_f32_e32 v60, v88, v7
	;; [unrolled: 1-line block ×3, first 2 shown]
	v_fmac_f32_e32 v49, v89, v4
	v_mul_f32_e32 v63, v84, v19
	v_fma_f32 v65, v87, v7, -v0
	v_mul_f32_e32 v4, v84, v18
	v_sub_f32_e32 v0, v8, v59
	v_sub_f32_e32 v1, v9, v1
	v_fma_f32 v58, v89, v5, -v58
	v_fma_f32 v66, v85, v17, -v2
	v_sub_f32_e32 v2, v10, v61
	v_sub_f32_e32 v3, v11, v3
	v_fmac_f32_e32 v60, v87, v6
	v_fmac_f32_e32 v62, v85, v16
	v_fmac_f32_e32 v63, v83, v18
	v_fma_f32 v59, v83, v19, -v4
	v_fma_f32 v4, v8, 2.0, -v0
	v_fma_f32 v5, v9, 2.0, -v1
	v_sub_f32_e32 v8, v50, v57
	v_sub_f32_e32 v9, v51, v48
	v_fma_f32 v6, v10, 2.0, -v2
	v_fma_f32 v7, v11, 2.0, -v3
	v_sub_f32_e32 v10, v12, v49
	v_sub_f32_e32 v11, v13, v58
	;; [unrolled: 1-line block ×6, first 2 shown]
	v_fma_f32 v16, v50, 2.0, -v8
	v_fma_f32 v17, v51, 2.0, -v9
	v_sub_f32_e32 v50, v46, v63
	v_sub_f32_e32 v51, v47, v59
	ds_write2_b64 v108, v[4:5], v[0:1] offset1:68
	ds_write2_b64 v108, v[6:7], v[2:3] offset0:136 offset1:204
	v_add_nc_u32_e32 v0, 0x800, v119
	v_fma_f32 v12, v12, 2.0, -v10
	v_fma_f32 v13, v13, 2.0, -v11
	v_add_nc_u32_e32 v1, 0x800, v117
	v_fma_f32 v14, v14, 2.0, -v18
	v_fma_f32 v15, v15, 2.0, -v19
	;; [unrolled: 3-line block ×4, first 2 shown]
	v_add_nc_u32_e32 v4, 0x1800, v115
	ds_write2_b64 v0, v[16:17], v[8:9] offset0:16 offset1:84
	ds_write2_b64 v1, v[12:13], v[10:11] offset0:152 offset1:220
	;; [unrolled: 1-line block ×5, first 2 shown]
	s_waitcnt lgkmcnt(0)
	s_barrier
	buffer_gl0_inv
	ds_read_b64 v[48:49], v108 offset:1088
	ds_read2_b64 v[0:3], v54 offset0:76 offset1:144
	ds_read2_b64 v[4:7], v56 offset0:84 offset1:152
	;; [unrolled: 1-line block ×5, first 2 shown]
	ds_read_b64 v[50:51], v108 offset:4896
	ds_read2_b64 v[44:47], v108 offset1:68
	s_waitcnt lgkmcnt(7)
	v_mul_f32_e32 v52, v37, v49
	v_mul_f32_e32 v37, v37, v48
	s_waitcnt lgkmcnt(6)
	v_mul_f32_e32 v53, v39, v3
	v_mul_f32_e32 v39, v39, v2
	v_fmac_f32_e32 v52, v36, v48
	v_fma_f32 v36, v36, v49, -v37
	v_fmac_f32_e32 v53, v38, v2
	v_fma_f32 v2, v38, v3, -v39
	s_waitcnt lgkmcnt(5)
	v_mul_f32_e32 v3, v29, v7
	v_mul_f32_e32 v29, v29, v6
	s_waitcnt lgkmcnt(4)
	v_mul_f32_e32 v37, v31, v11
	v_mul_f32_e32 v31, v31, v10
	s_waitcnt lgkmcnt(3)
	v_mul_f32_e32 v38, v41, v13
	v_fmac_f32_e32 v3, v28, v6
	v_fma_f32 v6, v28, v7, -v29
	v_fmac_f32_e32 v37, v30, v10
	v_fma_f32 v7, v30, v11, -v31
	v_fmac_f32_e32 v38, v40, v12
	v_mul_f32_e32 v10, v41, v12
	s_waitcnt lgkmcnt(2)
	v_mul_f32_e32 v11, v43, v17
	v_mul_f32_e32 v12, v43, v16
	;; [unrolled: 1-line block ×4, first 2 shown]
	v_fma_f32 v10, v40, v13, -v10
	v_fmac_f32_e32 v11, v42, v16
	v_fma_f32 v12, v42, v17, -v12
	v_fmac_f32_e32 v28, v32, v0
	v_fma_f32 v0, v32, v1, -v29
	v_mul_f32_e32 v1, v35, v5
	v_mul_f32_e32 v13, v35, v4
	;; [unrolled: 1-line block ×4, first 2 shown]
	s_waitcnt lgkmcnt(1)
	v_mul_f32_e32 v25, v27, v51
	v_fmac_f32_e32 v1, v34, v4
	v_fma_f32 v29, v34, v5, -v13
	v_fmac_f32_e32 v16, v24, v8
	v_fma_f32 v17, v24, v9, -v17
	v_mul_f32_e32 v4, v27, v50
	v_mul_f32_e32 v24, v21, v15
	;; [unrolled: 1-line block ×5, first 2 shown]
	v_fma_f32 v23, v26, v51, -v4
	v_fmac_f32_e32 v24, v20, v14
	v_fma_f32 v20, v20, v15, -v5
	v_fmac_f32_e32 v21, v22, v18
	v_fma_f32 v18, v22, v19, -v8
	v_add_f32_e32 v4, v52, v11
	v_add_f32_e32 v5, v36, v12
	v_sub_f32_e32 v8, v52, v11
	v_sub_f32_e32 v9, v36, v12
	v_add_f32_e32 v11, v53, v38
	v_add_f32_e32 v12, v2, v10
	v_sub_f32_e32 v13, v53, v38
	v_sub_f32_e32 v2, v2, v10
	;; [unrolled: 4-line block ×3, first 2 shown]
	v_add_f32_e32 v7, v11, v4
	v_add_f32_e32 v15, v12, v5
	v_fmac_f32_e32 v25, v26, v50
	v_sub_f32_e32 v19, v11, v4
	v_sub_f32_e32 v22, v12, v5
	;; [unrolled: 1-line block ×6, first 2 shown]
	v_add_f32_e32 v26, v3, v13
	v_add_f32_e32 v27, v6, v2
	v_sub_f32_e32 v30, v3, v13
	v_sub_f32_e32 v31, v6, v2
	;; [unrolled: 1-line block ×3, first 2 shown]
	v_add_f32_e32 v7, v10, v7
	v_add_f32_e32 v10, v14, v15
	v_sub_f32_e32 v14, v2, v9
	v_sub_f32_e32 v32, v8, v3
	;; [unrolled: 1-line block ×3, first 2 shown]
	v_add_f32_e32 v8, v26, v8
	v_add_f32_e32 v9, v27, v9
	s_waitcnt lgkmcnt(0)
	v_add_f32_e32 v2, v44, v7
	v_add_f32_e32 v3, v45, v10
	v_mul_f32_e32 v4, 0x3f4a47b2, v4
	v_mul_f32_e32 v5, 0x3f4a47b2, v5
	;; [unrolled: 1-line block ×8, first 2 shown]
	v_fmamk_f32 v7, v7, 0xbf955555, v2
	v_fmamk_f32 v10, v10, 0xbf955555, v3
	;; [unrolled: 1-line block ×4, first 2 shown]
	v_fma_f32 v15, 0x3f3bfb3b, v19, -v15
	v_fma_f32 v26, 0x3f3bfb3b, v22, -v26
	;; [unrolled: 1-line block ×4, first 2 shown]
	v_fmamk_f32 v19, v32, 0xbeae86e6, v27
	v_fmamk_f32 v22, v6, 0xbeae86e6, v30
	v_fma_f32 v13, 0xbf5ff5aa, v13, -v27
	v_fma_f32 v14, 0xbf5ff5aa, v14, -v30
	;; [unrolled: 1-line block ×4, first 2 shown]
	v_add_f32_e32 v31, v11, v7
	v_add_f32_e32 v32, v12, v10
	;; [unrolled: 1-line block ×6, first 2 shown]
	v_fmac_f32_e32 v19, 0xbee1c552, v8
	v_fmac_f32_e32 v22, 0xbee1c552, v9
	;; [unrolled: 1-line block ×6, first 2 shown]
	v_add_f32_e32 v4, v22, v31
	v_sub_f32_e32 v5, v32, v19
	v_add_f32_e32 v6, v30, v15
	v_sub_f32_e32 v7, v26, v27
	v_sub_f32_e32 v8, v11, v14
	v_add_f32_e32 v9, v13, v12
	v_add_f32_e32 v10, v14, v11
	v_sub_f32_e32 v11, v12, v13
	v_sub_f32_e32 v12, v15, v30
	v_add_f32_e32 v13, v27, v26
	v_sub_f32_e32 v14, v31, v22
	v_add_f32_e32 v15, v19, v32
	v_add_f32_e32 v19, v28, v21
	;; [unrolled: 1-line block ×3, first 2 shown]
	v_sub_f32_e32 v0, v0, v18
	v_add_f32_e32 v18, v1, v24
	v_add_f32_e32 v26, v29, v20
	v_sub_f32_e32 v1, v1, v24
	v_sub_f32_e32 v20, v29, v20
	v_add_f32_e32 v24, v16, v25
	v_add_f32_e32 v27, v17, v23
	v_sub_f32_e32 v16, v25, v16
	;; [unrolled: 4-line block ×3, first 2 shown]
	v_sub_f32_e32 v28, v18, v19
	v_sub_f32_e32 v29, v26, v22
	;; [unrolled: 1-line block ×6, first 2 shown]
	v_add_f32_e32 v30, v16, v1
	v_add_f32_e32 v31, v17, v20
	v_sub_f32_e32 v32, v16, v1
	v_sub_f32_e32 v33, v17, v20
	v_add_f32_e32 v23, v24, v23
	v_add_f32_e32 v24, v27, v25
	v_sub_f32_e32 v1, v1, v21
	v_sub_f32_e32 v20, v20, v0
	;; [unrolled: 1-line block ×4, first 2 shown]
	v_add_f32_e32 v21, v30, v21
	v_add_f32_e32 v0, v31, v0
	;; [unrolled: 1-line block ×4, first 2 shown]
	v_mul_f32_e32 v22, 0x3f4a47b2, v22
	v_mul_f32_e32 v25, 0x3d64c772, v18
	;; [unrolled: 1-line block ×8, first 2 shown]
	v_fmamk_f32 v23, v23, 0xbf955555, v16
	v_fmamk_f32 v24, v24, 0xbf955555, v17
	;; [unrolled: 1-line block ×3, first 2 shown]
	v_fma_f32 v25, 0x3f3bfb3b, v28, -v25
	v_fma_f32 v27, 0x3f3bfb3b, v29, -v27
	;; [unrolled: 1-line block ×3, first 2 shown]
	v_fmamk_f32 v29, v34, 0xbeae86e6, v30
	v_fma_f32 v1, 0xbf5ff5aa, v1, -v30
	v_fma_f32 v30, 0xbf5ff5aa, v20, -v31
	v_fmamk_f32 v18, v18, 0x3d64c772, v19
	v_fma_f32 v19, 0xbf3bfb3b, v28, -v19
	v_fmamk_f32 v28, v35, 0xbeae86e6, v31
	v_fma_f32 v31, 0x3eae86e6, v34, -v32
	v_fma_f32 v32, 0x3eae86e6, v35, -v33
	v_add_f32_e32 v34, v26, v24
	v_add_f32_e32 v25, v25, v23
	;; [unrolled: 1-line block ×3, first 2 shown]
	v_fmac_f32_e32 v1, 0xbee1c552, v21
	v_fmac_f32_e32 v30, 0xbee1c552, v0
	v_add_f32_e32 v33, v18, v23
	v_add_f32_e32 v27, v19, v23
	;; [unrolled: 1-line block ×3, first 2 shown]
	v_fmac_f32_e32 v29, 0xbee1c552, v21
	v_fmac_f32_e32 v28, 0xbee1c552, v0
	;; [unrolled: 1-line block ×4, first 2 shown]
	v_sub_f32_e32 v22, v25, v30
	v_add_f32_e32 v23, v1, v26
	v_add_f32_e32 v24, v30, v25
	v_sub_f32_e32 v25, v26, v1
	v_add_nc_u32_e32 v1, 0x800, v109
	v_add_nc_u32_e32 v0, 0x1000, v109
	v_add_f32_e32 v18, v28, v33
	v_sub_f32_e32 v19, v34, v29
	v_add_f32_e32 v20, v32, v27
	v_sub_f32_e32 v21, v35, v31
	ds_write_b64 v114, v[2:3]
	ds_write2_b64 v1, v[6:7], v[8:9] offset0:16 offset1:152
	ds_write2_b64 v0, v[10:11], v[12:13] offset0:32 offset1:168
	v_add_nc_u32_e32 v2, 0x400, v64
	v_add_nc_u32_e32 v3, 0xc00, v64
	v_sub_f32_e32 v26, v27, v32
	v_add_f32_e32 v27, v31, v35
	v_sub_f32_e32 v28, v33, v28
	v_add_f32_e32 v29, v29, v34
	v_add_nc_u32_e32 v6, 0x1400, v64
	ds_write_b64 v109, v[14:15] offset:6528
	ds_write2_b64 v109, v[16:17], v[4:5] offset0:68 offset1:136
	ds_write2_b64 v2, v[18:19], v[20:21] offset0:8 offset1:144
	;; [unrolled: 1-line block ×4, first 2 shown]
	s_waitcnt lgkmcnt(0)
	s_barrier
	buffer_gl0_inv
	s_and_b32 exec_lo, exec_lo, vcc_lo
	s_cbranch_execz .LBB0_23
; %bb.22:
	global_load_dwordx2 v[2:3], v105, s[12:13]
	ds_read_b64 v[4:5], v114
	s_mov_b32 s0, 0x1135c811
	s_mov_b32 s1, 0x3f5135c8
	v_mad_u64_u32 v[8:9], null, s4, v106, 0
	s_mul_i32 s2, s5, 0x1c0
	s_mul_i32 s3, s4, 0x1c0
	s_waitcnt vmcnt(0) lgkmcnt(0)
	v_mul_f32_e32 v6, v5, v3
	v_mul_f32_e32 v3, v4, v3
	v_fmac_f32_e32 v6, v4, v2
	v_fma_f32 v4, v2, v5, -v3
	v_cvt_f64_f32_e32 v[2:3], v6
	v_cvt_f64_f32_e32 v[4:5], v4
	v_mad_u64_u32 v[6:7], null, s6, v72, 0
	s_mul_hi_u32 s6, s4, 0x1c0
	s_add_i32 s2, s6, s2
	v_add_co_u32 v15, s6, s12, v105
	v_add_co_ci_u32_e64 v16, null, s13, 0, s6
	v_mad_u64_u32 v[10:11], null, s7, v72, v[7:8]
	v_mad_u64_u32 v[11:12], null, s5, v106, v[9:10]
	v_mov_b32_e32 v7, v10
	v_mul_f64 v[2:3], v[2:3], s[0:1]
	v_mul_f64 v[4:5], v[4:5], s[0:1]
	v_mov_b32_e32 v9, v11
	v_cvt_f32_f64_e32 v2, v[2:3]
	v_cvt_f32_f64_e32 v3, v[4:5]
	v_lshlrev_b64 v[4:5], 3, v[6:7]
	v_lshlrev_b64 v[6:7], 3, v[8:9]
	v_add_co_u32 v13, vcc_lo, s14, v4
	v_add_co_ci_u32_e32 v14, vcc_lo, s15, v5, vcc_lo
	v_add_co_u32 v6, vcc_lo, v13, v6
	v_add_co_ci_u32_e32 v7, vcc_lo, v14, v7, vcc_lo
	global_store_dwordx2 v[6:7], v[2:3], off
	global_load_dwordx2 v[8:9], v105, s[12:13] offset:448
	ds_read2_b64 v[2:5], v109 offset0:56 offset1:112
	v_add_co_u32 v6, vcc_lo, v6, s3
	v_add_co_ci_u32_e32 v7, vcc_lo, s2, v7, vcc_lo
	s_waitcnt vmcnt(0) lgkmcnt(0)
	v_mul_f32_e32 v10, v3, v9
	v_mul_f32_e32 v9, v2, v9
	v_fmac_f32_e32 v10, v2, v8
	v_fma_f32 v8, v8, v3, -v9
	v_cvt_f64_f32_e32 v[2:3], v10
	v_cvt_f64_f32_e32 v[8:9], v8
	v_mul_f64 v[2:3], v[2:3], s[0:1]
	v_mul_f64 v[8:9], v[8:9], s[0:1]
	v_cvt_f32_f64_e32 v2, v[2:3]
	v_cvt_f32_f64_e32 v3, v[8:9]
	global_store_dwordx2 v[6:7], v[2:3], off
	global_load_dwordx2 v[2:3], v105, s[12:13] offset:896
	v_add_co_u32 v6, vcc_lo, v6, s3
	v_add_co_ci_u32_e32 v7, vcc_lo, s2, v7, vcc_lo
	s_waitcnt vmcnt(0)
	v_mul_f32_e32 v8, v5, v3
	v_mul_f32_e32 v3, v4, v3
	v_fmac_f32_e32 v8, v4, v2
	v_fma_f32 v4, v2, v5, -v3
	v_cvt_f64_f32_e32 v[2:3], v8
	v_cvt_f64_f32_e32 v[4:5], v4
	v_mul_f64 v[2:3], v[2:3], s[0:1]
	v_mul_f64 v[4:5], v[4:5], s[0:1]
	v_cvt_f32_f64_e32 v2, v[2:3]
	v_cvt_f32_f64_e32 v3, v[4:5]
	global_store_dwordx2 v[6:7], v[2:3], off
	global_load_dwordx2 v[8:9], v105, s[12:13] offset:1344
	ds_read2_b64 v[2:5], v109 offset0:168 offset1:224
	v_add_co_u32 v6, vcc_lo, v6, s3
	v_add_co_ci_u32_e32 v7, vcc_lo, s2, v7, vcc_lo
	s_waitcnt vmcnt(0) lgkmcnt(0)
	v_mul_f32_e32 v10, v3, v9
	v_mul_f32_e32 v9, v2, v9
	v_fmac_f32_e32 v10, v2, v8
	v_fma_f32 v8, v8, v3, -v9
	v_cvt_f64_f32_e32 v[2:3], v10
	v_cvt_f64_f32_e32 v[8:9], v8
	v_mul_f64 v[2:3], v[2:3], s[0:1]
	v_mul_f64 v[8:9], v[8:9], s[0:1]
	v_cvt_f32_f64_e32 v2, v[2:3]
	v_cvt_f32_f64_e32 v3, v[8:9]
	global_store_dwordx2 v[6:7], v[2:3], off
	global_load_dwordx2 v[2:3], v105, s[12:13] offset:1792
	v_add_co_u32 v6, vcc_lo, v6, s3
	v_add_co_ci_u32_e32 v7, vcc_lo, s2, v7, vcc_lo
	s_waitcnt vmcnt(0)
	v_mul_f32_e32 v8, v5, v3
	v_mul_f32_e32 v3, v4, v3
	v_fmac_f32_e32 v8, v4, v2
	v_fma_f32 v4, v2, v5, -v3
	v_cvt_f64_f32_e32 v[2:3], v8
	v_cvt_f64_f32_e32 v[4:5], v4
	v_add_co_u32 v8, vcc_lo, 0x800, v15
	v_add_co_ci_u32_e32 v9, vcc_lo, 0, v16, vcc_lo
	v_mul_f64 v[2:3], v[2:3], s[0:1]
	v_mul_f64 v[4:5], v[4:5], s[0:1]
	v_cvt_f32_f64_e32 v2, v[2:3]
	v_cvt_f32_f64_e32 v3, v[4:5]
	global_store_dwordx2 v[6:7], v[2:3], off
	global_load_dwordx2 v[10:11], v[8:9], off offset:192
	ds_read2_b64 v[2:5], v1 offset0:24 offset1:80
	v_add_co_u32 v6, vcc_lo, v6, s3
	v_add_co_ci_u32_e32 v7, vcc_lo, s2, v7, vcc_lo
	s_waitcnt vmcnt(0) lgkmcnt(0)
	v_mul_f32_e32 v12, v3, v11
	v_mul_f32_e32 v11, v2, v11
	v_fmac_f32_e32 v12, v2, v10
	v_fma_f32 v10, v10, v3, -v11
	v_cvt_f64_f32_e32 v[2:3], v12
	v_cvt_f64_f32_e32 v[10:11], v10
	v_mul_f64 v[2:3], v[2:3], s[0:1]
	v_mul_f64 v[10:11], v[10:11], s[0:1]
	v_cvt_f32_f64_e32 v2, v[2:3]
	v_cvt_f32_f64_e32 v3, v[10:11]
	global_store_dwordx2 v[6:7], v[2:3], off
	global_load_dwordx2 v[2:3], v[8:9], off offset:640
	s_waitcnt vmcnt(0)
	v_mul_f32_e32 v10, v5, v3
	v_mul_f32_e32 v3, v4, v3
	v_fmac_f32_e32 v10, v4, v2
	v_fma_f32 v4, v2, v5, -v3
	v_cvt_f64_f32_e32 v[2:3], v10
	v_cvt_f64_f32_e32 v[4:5], v4
	v_mul_f64 v[2:3], v[2:3], s[0:1]
	v_mul_f64 v[4:5], v[4:5], s[0:1]
	v_cvt_f32_f64_e32 v2, v[2:3]
	v_cvt_f32_f64_e32 v3, v[4:5]
	v_add_co_u32 v5, vcc_lo, v6, s3
	v_add_co_ci_u32_e32 v6, vcc_lo, s2, v7, vcc_lo
	global_store_dwordx2 v[5:6], v[2:3], off
	global_load_dwordx2 v[10:11], v[8:9], off offset:1088
	ds_read2_b64 v[1:4], v1 offset0:136 offset1:192
	v_add_co_u32 v5, vcc_lo, v5, s3
	v_add_co_ci_u32_e32 v6, vcc_lo, s2, v6, vcc_lo
	s_waitcnt vmcnt(0) lgkmcnt(0)
	v_mul_f32_e32 v7, v2, v11
	v_mul_f32_e32 v11, v1, v11
	v_fmac_f32_e32 v7, v1, v10
	v_fma_f32 v10, v10, v2, -v11
	v_cvt_f64_f32_e32 v[1:2], v7
	v_cvt_f64_f32_e32 v[10:11], v10
	v_lshlrev_b32_e32 v7, 3, v104
	v_mul_f64 v[1:2], v[1:2], s[0:1]
	v_mul_f64 v[10:11], v[10:11], s[0:1]
	v_cvt_f32_f64_e32 v1, v[1:2]
	v_cvt_f32_f64_e32 v2, v[10:11]
	v_mad_u64_u32 v[10:11], null, s4, v104, 0
	global_store_dwordx2 v[5:6], v[1:2], off
	global_load_dwordx2 v[1:2], v7, s[12:13]
	v_mad_u64_u32 v[5:6], null, 0x380, s4, v[5:6]
	s_waitcnt vmcnt(0)
	v_mul_f32_e32 v7, v4, v2
	v_mul_f32_e32 v2, v3, v2
	v_fmac_f32_e32 v7, v3, v1
	v_fma_f32 v3, v1, v4, -v2
	v_cvt_f64_f32_e32 v[1:2], v7
	v_cvt_f64_f32_e32 v[3:4], v3
	v_mov_b32_e32 v7, v11
	v_mad_u64_u32 v[11:12], null, s5, v104, v[7:8]
	v_mul_f64 v[1:2], v[1:2], s[0:1]
	v_mul_f64 v[3:4], v[3:4], s[0:1]
	v_cvt_f32_f64_e32 v1, v[1:2]
	v_cvt_f32_f64_e32 v2, v[3:4]
	v_lshlrev_b64 v[3:4], 3, v[10:11]
	v_add_co_u32 v3, vcc_lo, v13, v3
	v_add_co_ci_u32_e32 v4, vcc_lo, v14, v4, vcc_lo
	global_store_dwordx2 v[3:4], v[1:2], off
	global_load_dwordx2 v[7:8], v[8:9], off offset:1984
	v_add_nc_u32_e32 v1, 0xc00, v109
	ds_read2_b64 v[1:4], v1 offset0:120 offset1:176
	s_waitcnt vmcnt(0) lgkmcnt(0)
	v_mul_f32_e32 v9, v2, v8
	v_mul_f32_e32 v8, v1, v8
	v_fmac_f32_e32 v9, v1, v7
	v_fma_f32 v7, v7, v2, -v8
	v_cvt_f64_f32_e32 v[1:2], v9
	v_cvt_f64_f32_e32 v[7:8], v7
	v_mul_f64 v[1:2], v[1:2], s[0:1]
	v_mul_f64 v[7:8], v[7:8], s[0:1]
	v_cvt_f32_f64_e32 v1, v[1:2]
	v_cvt_f32_f64_e32 v2, v[7:8]
	v_mad_u64_u32 v[6:7], null, 0x380, s5, v[6:7]
	v_add_co_u32 v7, vcc_lo, 0x1000, v15
	v_add_co_ci_u32_e32 v8, vcc_lo, 0, v16, vcc_lo
	global_store_dwordx2 v[5:6], v[1:2], off
	global_load_dwordx2 v[1:2], v[7:8], off offset:384
	s_waitcnt vmcnt(0)
	v_mul_f32_e32 v9, v4, v2
	v_mul_f32_e32 v2, v3, v2
	v_fmac_f32_e32 v9, v3, v1
	v_fma_f32 v3, v1, v4, -v2
	v_cvt_f64_f32_e32 v[1:2], v9
	v_cvt_f64_f32_e32 v[3:4], v3
	v_mul_f64 v[1:2], v[1:2], s[0:1]
	v_mul_f64 v[3:4], v[3:4], s[0:1]
	v_cvt_f32_f64_e32 v1, v[1:2]
	v_cvt_f32_f64_e32 v2, v[3:4]
	v_add_co_u32 v4, vcc_lo, v5, s3
	v_add_co_ci_u32_e32 v5, vcc_lo, s2, v6, vcc_lo
	global_store_dwordx2 v[4:5], v[1:2], off
	global_load_dwordx2 v[9:10], v[7:8], off offset:832
	ds_read2_b64 v[0:3], v0 offset0:104 offset1:160
	v_add_co_u32 v4, vcc_lo, v4, s3
	v_add_co_ci_u32_e32 v5, vcc_lo, s2, v5, vcc_lo
	s_waitcnt vmcnt(0) lgkmcnt(0)
	v_mul_f32_e32 v6, v1, v10
	v_mul_f32_e32 v10, v0, v10
	v_fmac_f32_e32 v6, v0, v9
	v_fma_f32 v9, v9, v1, -v10
	v_cvt_f64_f32_e32 v[0:1], v6
	v_cvt_f64_f32_e32 v[9:10], v9
	v_mul_f64 v[0:1], v[0:1], s[0:1]
	v_mul_f64 v[9:10], v[9:10], s[0:1]
	v_cvt_f32_f64_e32 v0, v[0:1]
	v_cvt_f32_f64_e32 v1, v[9:10]
	global_store_dwordx2 v[4:5], v[0:1], off
	global_load_dwordx2 v[0:1], v[7:8], off offset:1280
	v_add_co_u32 v4, vcc_lo, v4, s3
	v_add_co_ci_u32_e32 v5, vcc_lo, s2, v5, vcc_lo
	s_waitcnt vmcnt(0)
	v_mul_f32_e32 v6, v3, v1
	v_mul_f32_e32 v1, v2, v1
	v_fmac_f32_e32 v6, v2, v0
	v_fma_f32 v2, v0, v3, -v1
	v_cvt_f64_f32_e32 v[0:1], v6
	v_cvt_f64_f32_e32 v[2:3], v2
	v_mul_f64 v[0:1], v[0:1], s[0:1]
	v_mul_f64 v[2:3], v[2:3], s[0:1]
	v_cvt_f32_f64_e32 v0, v[0:1]
	v_cvt_f32_f64_e32 v1, v[2:3]
	global_store_dwordx2 v[4:5], v[0:1], off
	global_load_dwordx2 v[6:7], v[7:8], off offset:1728
	v_add_nc_u32_e32 v0, 0x1400, v109
	v_add_co_u32 v4, vcc_lo, v4, s3
	v_add_co_ci_u32_e32 v5, vcc_lo, s2, v5, vcc_lo
	ds_read2_b64 v[0:3], v0 offset0:88 offset1:144
	s_waitcnt vmcnt(0) lgkmcnt(0)
	v_mul_f32_e32 v8, v1, v7
	v_mul_f32_e32 v7, v0, v7
	v_fmac_f32_e32 v8, v0, v6
	v_fma_f32 v6, v6, v1, -v7
	v_cvt_f64_f32_e32 v[0:1], v8
	v_cvt_f64_f32_e32 v[6:7], v6
	v_mul_f64 v[0:1], v[0:1], s[0:1]
	v_mul_f64 v[6:7], v[6:7], s[0:1]
	v_cvt_f32_f64_e32 v0, v[0:1]
	v_cvt_f32_f64_e32 v1, v[6:7]
	v_add_co_u32 v6, vcc_lo, 0x1800, v15
	v_add_co_ci_u32_e32 v7, vcc_lo, 0, v16, vcc_lo
	global_store_dwordx2 v[4:5], v[0:1], off
	global_load_dwordx2 v[0:1], v[6:7], off offset:128
	v_add_co_u32 v4, vcc_lo, v4, s3
	v_add_co_ci_u32_e32 v5, vcc_lo, s2, v5, vcc_lo
	s_waitcnt vmcnt(0)
	v_mul_f32_e32 v8, v3, v1
	v_mul_f32_e32 v1, v2, v1
	v_fmac_f32_e32 v8, v2, v0
	v_fma_f32 v2, v0, v3, -v1
	v_cvt_f64_f32_e32 v[0:1], v8
	v_cvt_f64_f32_e32 v[2:3], v2
	v_mul_f64 v[0:1], v[0:1], s[0:1]
	v_mul_f64 v[2:3], v[2:3], s[0:1]
	v_cvt_f32_f64_e32 v0, v[0:1]
	v_cvt_f32_f64_e32 v1, v[2:3]
	global_store_dwordx2 v[4:5], v[0:1], off
	global_load_dwordx2 v[6:7], v[6:7], off offset:576
	v_add_nc_u32_e32 v0, 0x1800, v109
	v_add_co_u32 v4, vcc_lo, v4, s3
	v_add_co_ci_u32_e32 v5, vcc_lo, s2, v5, vcc_lo
	ds_read2_b64 v[0:3], v0 offset0:72 offset1:128
	s_waitcnt vmcnt(0) lgkmcnt(0)
	v_mul_f32_e32 v8, v1, v7
	v_mul_f32_e32 v7, v0, v7
	v_fmac_f32_e32 v8, v0, v6
	v_fma_f32 v6, v6, v1, -v7
	v_cvt_f64_f32_e32 v[0:1], v8
	v_cvt_f64_f32_e32 v[6:7], v6
	v_mul_f64 v[0:1], v[0:1], s[0:1]
	v_mul_f64 v[6:7], v[6:7], s[0:1]
	v_cvt_f32_f64_e32 v0, v[0:1]
	v_cvt_f32_f64_e32 v1, v[6:7]
	v_lshlrev_b32_e32 v6, 3, v103
	global_store_dwordx2 v[4:5], v[0:1], off
	global_load_dwordx2 v[0:1], v6, s[12:13]
	s_waitcnt vmcnt(0)
	v_mul_f32_e32 v4, v3, v1
	v_mul_f32_e32 v1, v2, v1
	v_fmac_f32_e32 v4, v2, v0
	v_fma_f32 v2, v0, v3, -v1
	v_cvt_f64_f32_e32 v[0:1], v4
	v_cvt_f64_f32_e32 v[2:3], v2
	v_mad_u64_u32 v[4:5], null, s4, v103, 0
	v_mad_u64_u32 v[5:6], null, s5, v103, v[5:6]
	v_mul_f64 v[0:1], v[0:1], s[0:1]
	v_mul_f64 v[2:3], v[2:3], s[0:1]
	v_cvt_f32_f64_e32 v0, v[0:1]
	v_cvt_f32_f64_e32 v1, v[2:3]
	v_lshlrev_b64 v[2:3], 3, v[4:5]
	v_add_co_u32 v2, vcc_lo, v13, v2
	v_add_co_ci_u32_e32 v3, vcc_lo, v14, v3, vcc_lo
	global_store_dwordx2 v[2:3], v[0:1], off
.LBB0_23:
	s_endpgm
	.section	.rodata,"a",@progbits
	.p2align	6, 0x0
	.amdhsa_kernel bluestein_single_back_len952_dim1_sp_op_CI_CI
		.amdhsa_group_segment_fixed_size 22848
		.amdhsa_private_segment_fixed_size 0
		.amdhsa_kernarg_size 104
		.amdhsa_user_sgpr_count 6
		.amdhsa_user_sgpr_private_segment_buffer 1
		.amdhsa_user_sgpr_dispatch_ptr 0
		.amdhsa_user_sgpr_queue_ptr 0
		.amdhsa_user_sgpr_kernarg_segment_ptr 1
		.amdhsa_user_sgpr_dispatch_id 0
		.amdhsa_user_sgpr_flat_scratch_init 0
		.amdhsa_user_sgpr_private_segment_size 0
		.amdhsa_wavefront_size32 1
		.amdhsa_uses_dynamic_stack 0
		.amdhsa_system_sgpr_private_segment_wavefront_offset 0
		.amdhsa_system_sgpr_workgroup_id_x 1
		.amdhsa_system_sgpr_workgroup_id_y 0
		.amdhsa_system_sgpr_workgroup_id_z 0
		.amdhsa_system_sgpr_workgroup_info 0
		.amdhsa_system_vgpr_workitem_id 0
		.amdhsa_next_free_vgpr 245
		.amdhsa_next_free_sgpr 16
		.amdhsa_reserve_vcc 1
		.amdhsa_reserve_flat_scratch 0
		.amdhsa_float_round_mode_32 0
		.amdhsa_float_round_mode_16_64 0
		.amdhsa_float_denorm_mode_32 3
		.amdhsa_float_denorm_mode_16_64 3
		.amdhsa_dx10_clamp 1
		.amdhsa_ieee_mode 1
		.amdhsa_fp16_overflow 0
		.amdhsa_workgroup_processor_mode 1
		.amdhsa_memory_ordered 1
		.amdhsa_forward_progress 0
		.amdhsa_shared_vgpr_count 0
		.amdhsa_exception_fp_ieee_invalid_op 0
		.amdhsa_exception_fp_denorm_src 0
		.amdhsa_exception_fp_ieee_div_zero 0
		.amdhsa_exception_fp_ieee_overflow 0
		.amdhsa_exception_fp_ieee_underflow 0
		.amdhsa_exception_fp_ieee_inexact 0
		.amdhsa_exception_int_div_zero 0
	.end_amdhsa_kernel
	.text
.Lfunc_end0:
	.size	bluestein_single_back_len952_dim1_sp_op_CI_CI, .Lfunc_end0-bluestein_single_back_len952_dim1_sp_op_CI_CI
                                        ; -- End function
	.section	.AMDGPU.csdata,"",@progbits
; Kernel info:
; codeLenInByte = 21172
; NumSgprs: 18
; NumVgprs: 245
; ScratchSize: 0
; MemoryBound: 0
; FloatMode: 240
; IeeeMode: 1
; LDSByteSize: 22848 bytes/workgroup (compile time only)
; SGPRBlocks: 2
; VGPRBlocks: 30
; NumSGPRsForWavesPerEU: 18
; NumVGPRsForWavesPerEU: 245
; Occupancy: 4
; WaveLimiterHint : 1
; COMPUTE_PGM_RSRC2:SCRATCH_EN: 0
; COMPUTE_PGM_RSRC2:USER_SGPR: 6
; COMPUTE_PGM_RSRC2:TRAP_HANDLER: 0
; COMPUTE_PGM_RSRC2:TGID_X_EN: 1
; COMPUTE_PGM_RSRC2:TGID_Y_EN: 0
; COMPUTE_PGM_RSRC2:TGID_Z_EN: 0
; COMPUTE_PGM_RSRC2:TIDIG_COMP_CNT: 0
	.text
	.p2alignl 6, 3214868480
	.fill 48, 4, 3214868480
	.type	__hip_cuid_47bc4943b9c3c993,@object ; @__hip_cuid_47bc4943b9c3c993
	.section	.bss,"aw",@nobits
	.globl	__hip_cuid_47bc4943b9c3c993
__hip_cuid_47bc4943b9c3c993:
	.byte	0                               ; 0x0
	.size	__hip_cuid_47bc4943b9c3c993, 1

	.ident	"AMD clang version 19.0.0git (https://github.com/RadeonOpenCompute/llvm-project roc-6.4.0 25133 c7fe45cf4b819c5991fe208aaa96edf142730f1d)"
	.section	".note.GNU-stack","",@progbits
	.addrsig
	.addrsig_sym __hip_cuid_47bc4943b9c3c993
	.amdgpu_metadata
---
amdhsa.kernels:
  - .args:
      - .actual_access:  read_only
        .address_space:  global
        .offset:         0
        .size:           8
        .value_kind:     global_buffer
      - .actual_access:  read_only
        .address_space:  global
        .offset:         8
        .size:           8
        .value_kind:     global_buffer
      - .actual_access:  read_only
        .address_space:  global
        .offset:         16
        .size:           8
        .value_kind:     global_buffer
      - .actual_access:  read_only
        .address_space:  global
        .offset:         24
        .size:           8
        .value_kind:     global_buffer
      - .actual_access:  read_only
        .address_space:  global
        .offset:         32
        .size:           8
        .value_kind:     global_buffer
      - .offset:         40
        .size:           8
        .value_kind:     by_value
      - .address_space:  global
        .offset:         48
        .size:           8
        .value_kind:     global_buffer
      - .address_space:  global
        .offset:         56
        .size:           8
        .value_kind:     global_buffer
      - .address_space:  global
        .offset:         64
        .size:           8
        .value_kind:     global_buffer
      - .address_space:  global
        .offset:         72
        .size:           8
        .value_kind:     global_buffer
      - .offset:         80
        .size:           4
        .value_kind:     by_value
      - .address_space:  global
        .offset:         88
        .size:           8
        .value_kind:     global_buffer
      - .address_space:  global
        .offset:         96
        .size:           8
        .value_kind:     global_buffer
    .group_segment_fixed_size: 22848
    .kernarg_segment_align: 8
    .kernarg_segment_size: 104
    .language:       OpenCL C
    .language_version:
      - 2
      - 0
    .max_flat_workgroup_size: 204
    .name:           bluestein_single_back_len952_dim1_sp_op_CI_CI
    .private_segment_fixed_size: 0
    .sgpr_count:     18
    .sgpr_spill_count: 0
    .symbol:         bluestein_single_back_len952_dim1_sp_op_CI_CI.kd
    .uniform_work_group_size: 1
    .uses_dynamic_stack: false
    .vgpr_count:     245
    .vgpr_spill_count: 0
    .wavefront_size: 32
    .workgroup_processor_mode: 1
amdhsa.target:   amdgcn-amd-amdhsa--gfx1030
amdhsa.version:
  - 1
  - 2
...

	.end_amdgpu_metadata
